;; amdgpu-corpus repo=ROCm/rocFFT kind=compiled arch=gfx906 opt=O3
	.text
	.amdgcn_target "amdgcn-amd-amdhsa--gfx906"
	.amdhsa_code_object_version 6
	.protected	bluestein_single_fwd_len833_dim1_sp_op_CI_CI ; -- Begin function bluestein_single_fwd_len833_dim1_sp_op_CI_CI
	.globl	bluestein_single_fwd_len833_dim1_sp_op_CI_CI
	.p2align	8
	.type	bluestein_single_fwd_len833_dim1_sp_op_CI_CI,@function
bluestein_single_fwd_len833_dim1_sp_op_CI_CI: ; @bluestein_single_fwd_len833_dim1_sp_op_CI_CI
; %bb.0:
	s_load_dwordx4 s[0:3], s[4:5], 0x28
	v_mul_u32_u24_e32 v1, 0x227, v0
	v_add_u32_sdwa v56, s6, v1 dst_sel:DWORD dst_unused:UNUSED_PAD src0_sel:DWORD src1_sel:WORD_1
	v_mov_b32_e32 v57, 0
	s_waitcnt lgkmcnt(0)
	v_cmp_gt_u64_e32 vcc, s[0:1], v[56:57]
	s_and_saveexec_b64 s[0:1], vcc
	s_cbranch_execz .LBB0_15
; %bb.1:
	s_load_dwordx2 s[8:9], s[4:5], 0x0
	s_load_dwordx2 s[10:11], s[4:5], 0x38
	s_movk_i32 s0, 0x77
	v_mul_lo_u16_sdwa v1, v1, s0 dst_sel:DWORD dst_unused:UNUSED_PAD src0_sel:WORD_1 src1_sel:DWORD
	v_sub_u16_e32 v72, v0, v1
	v_cmp_gt_u16_e64 s[0:1], 49, v72
	v_lshlrev_b32_e32 v71, 3, v72
	s_and_saveexec_b64 s[6:7], s[0:1]
	s_cbranch_execz .LBB0_3
; %bb.2:
	s_load_dwordx2 s[12:13], s[4:5], 0x18
	s_waitcnt lgkmcnt(0)
	v_mov_b32_e32 v34, s9
	s_load_dwordx4 s[12:15], s[12:13], 0x0
	s_waitcnt lgkmcnt(0)
	v_mad_u64_u32 v[0:1], s[16:17], s14, v56, 0
	v_mad_u64_u32 v[2:3], s[16:17], s12, v72, 0
	;; [unrolled: 1-line block ×4, first 2 shown]
	v_mov_b32_e32 v1, v4
	v_lshlrev_b64 v[0:1], 3, v[0:1]
	v_mov_b32_e32 v3, v5
	v_mov_b32_e32 v6, s3
	v_lshlrev_b64 v[2:3], 3, v[2:3]
	v_add_co_u32_e32 v0, vcc, s2, v0
	v_addc_co_u32_e32 v1, vcc, v6, v1, vcc
	v_add_co_u32_e32 v0, vcc, v0, v2
	s_mul_i32 s2, s13, 0x188
	s_mul_hi_u32 s3, s12, 0x188
	v_addc_co_u32_e32 v1, vcc, v1, v3, vcc
	s_add_i32 s2, s3, s2
	s_mul_i32 s3, s12, 0x188
	v_mov_b32_e32 v3, s2
	v_add_co_u32_e32 v2, vcc, s3, v0
	v_addc_co_u32_e32 v3, vcc, v1, v3, vcc
	v_mov_b32_e32 v5, s2
	v_add_co_u32_e32 v4, vcc, s3, v2
	v_addc_co_u32_e32 v5, vcc, v3, v5, vcc
	;; [unrolled: 3-line block ×3, first 2 shown]
	global_load_dwordx2 v[8:9], v[0:1], off
	global_load_dwordx2 v[10:11], v[2:3], off
	;; [unrolled: 1-line block ×4, first 2 shown]
	global_load_dwordx2 v[16:17], v71, s[8:9]
	global_load_dwordx2 v[18:19], v71, s[8:9] offset:392
	global_load_dwordx2 v[20:21], v71, s[8:9] offset:784
	;; [unrolled: 1-line block ×3, first 2 shown]
	v_mov_b32_e32 v1, s2
	v_add_co_u32_e32 v0, vcc, s3, v6
	v_addc_co_u32_e32 v1, vcc, v7, v1, vcc
	global_load_dwordx2 v[2:3], v[0:1], off
	v_mov_b32_e32 v4, s2
	v_add_co_u32_e32 v0, vcc, s3, v0
	v_addc_co_u32_e32 v1, vcc, v1, v4, vcc
	global_load_dwordx2 v[4:5], v[0:1], off
	;; [unrolled: 4-line block ×3, first 2 shown]
	v_mov_b32_e32 v24, s2
	v_add_co_u32_e32 v0, vcc, s3, v0
	v_addc_co_u32_e32 v1, vcc, v1, v24, vcc
	v_add_co_u32_e32 v48, vcc, s8, v71
	v_addc_co_u32_e32 v49, vcc, 0, v34, vcc
	global_load_dwordx2 v[24:25], v71, s[8:9] offset:1568
	global_load_dwordx2 v[26:27], v71, s[8:9] offset:1960
	;; [unrolled: 1-line block ×4, first 2 shown]
	global_load_dwordx2 v[32:33], v[0:1], off
	v_mov_b32_e32 v34, s2
	v_add_co_u32_e32 v0, vcc, s3, v0
	v_addc_co_u32_e32 v1, vcc, v1, v34, vcc
	global_load_dwordx2 v[34:35], v[0:1], off
	v_mov_b32_e32 v36, s2
	v_add_co_u32_e32 v0, vcc, s3, v0
	v_addc_co_u32_e32 v1, vcc, v1, v36, vcc
	;; [unrolled: 4-line block ×3, first 2 shown]
	global_load_dwordx2 v[38:39], v[0:1], off
	global_load_dwordx2 v[40:41], v71, s[8:9] offset:3136
	global_load_dwordx2 v[42:43], v71, s[8:9] offset:3528
	;; [unrolled: 1-line block ×3, first 2 shown]
	v_mov_b32_e32 v46, s2
	v_add_co_u32_e32 v0, vcc, s3, v0
	v_addc_co_u32_e32 v1, vcc, v1, v46, vcc
	s_movk_i32 s12, 0x1000
	v_add_co_u32_e32 v48, vcc, s12, v48
	v_addc_co_u32_e32 v49, vcc, 0, v49, vcc
	global_load_dwordx2 v[46:47], v[0:1], off
	v_mov_b32_e32 v50, s2
	v_add_co_u32_e32 v0, vcc, s3, v0
	v_addc_co_u32_e32 v1, vcc, v1, v50, vcc
	global_load_dwordx2 v[50:51], v[0:1], off
	global_load_dwordx2 v[52:53], v[48:49], off offset:216
	global_load_dwordx2 v[54:55], v[48:49], off offset:608
	v_mov_b32_e32 v57, s2
	v_add_co_u32_e32 v0, vcc, s3, v0
	v_addc_co_u32_e32 v1, vcc, v1, v57, vcc
	global_load_dwordx2 v[57:58], v[0:1], off
	v_mov_b32_e32 v59, s2
	v_add_co_u32_e32 v0, vcc, s3, v0
	v_addc_co_u32_e32 v1, vcc, v1, v59, vcc
	global_load_dwordx2 v[59:60], v[0:1], off
	global_load_dwordx2 v[61:62], v[48:49], off offset:1000
	global_load_dwordx2 v[63:64], v[48:49], off offset:1392
	v_mov_b32_e32 v65, s2
	v_add_co_u32_e32 v0, vcc, s3, v0
	v_addc_co_u32_e32 v1, vcc, v1, v65, vcc
	global_load_dwordx2 v[65:66], v[0:1], off
	global_load_dwordx2 v[67:68], v[48:49], off offset:1784
	v_mov_b32_e32 v69, s2
	v_add_co_u32_e32 v0, vcc, s3, v0
	v_addc_co_u32_e32 v1, vcc, v1, v69, vcc
	global_load_dwordx2 v[69:70], v[0:1], off
	global_load_dwordx2 v[73:74], v[48:49], off offset:2176
	s_waitcnt vmcnt(29)
	v_mul_f32_e32 v0, v9, v17
	v_mul_f32_e32 v1, v8, v17
	v_fmac_f32_e32 v0, v8, v16
	v_fma_f32 v1, v9, v16, -v1
	s_waitcnt vmcnt(28)
	v_mul_f32_e32 v8, v11, v19
	v_mul_f32_e32 v9, v10, v19
	v_fmac_f32_e32 v8, v10, v18
	v_fma_f32 v9, v11, v18, -v9
	s_waitcnt vmcnt(27)
	v_mul_f32_e32 v10, v13, v21
	v_mul_f32_e32 v11, v12, v21
	ds_write2_b64 v71, v[0:1], v[8:9] offset1:49
	s_waitcnt vmcnt(26)
	v_mul_f32_e32 v0, v15, v23
	v_mul_f32_e32 v1, v14, v23
	v_fmac_f32_e32 v10, v12, v20
	v_fma_f32 v11, v13, v20, -v11
	v_fmac_f32_e32 v0, v14, v22
	v_fma_f32 v1, v15, v22, -v1
	s_waitcnt vmcnt(22)
	v_mul_f32_e32 v8, v3, v25
	v_mul_f32_e32 v9, v2, v25
	ds_write2_b64 v71, v[10:11], v[0:1] offset0:98 offset1:147
	s_waitcnt vmcnt(21)
	v_mul_f32_e32 v0, v5, v27
	v_mul_f32_e32 v1, v4, v27
	v_fmac_f32_e32 v8, v2, v24
	v_fma_f32 v9, v3, v24, -v9
	v_fmac_f32_e32 v0, v4, v26
	v_fma_f32 v1, v5, v26, -v1
	ds_write2_b64 v71, v[8:9], v[0:1] offset0:196 offset1:245
	s_waitcnt vmcnt(20)
	v_mul_f32_e32 v0, v7, v29
	v_mul_f32_e32 v1, v6, v29
	s_waitcnt vmcnt(18)
	v_mul_f32_e32 v2, v33, v31
	v_mul_f32_e32 v3, v32, v31
	v_fmac_f32_e32 v0, v6, v28
	v_fma_f32 v1, v7, v28, -v1
	v_fmac_f32_e32 v2, v32, v30
	v_fma_f32 v3, v33, v30, -v3
	v_add_u32_e32 v4, 0x800, v71
	ds_write2_b64 v4, v[0:1], v[2:3] offset0:38 offset1:87
	s_waitcnt vmcnt(14)
	v_mul_f32_e32 v0, v35, v41
	v_mul_f32_e32 v1, v34, v41
	s_waitcnt vmcnt(13)
	v_mul_f32_e32 v2, v37, v43
	v_mul_f32_e32 v3, v36, v43
	v_fmac_f32_e32 v0, v34, v40
	v_fma_f32 v1, v35, v40, -v1
	v_fmac_f32_e32 v2, v36, v42
	v_fma_f32 v3, v37, v42, -v3
	ds_write2_b64 v4, v[0:1], v[2:3] offset0:136 offset1:185
	s_waitcnt vmcnt(12)
	v_mul_f32_e32 v0, v39, v45
	v_mul_f32_e32 v1, v38, v45
	v_fmac_f32_e32 v0, v38, v44
	v_fma_f32 v1, v39, v44, -v1
	v_add_u32_e32 v4, 0xc00, v71
	s_waitcnt vmcnt(9)
	v_mul_f32_e32 v2, v47, v53
	v_mul_f32_e32 v3, v46, v53
	v_fmac_f32_e32 v2, v46, v52
	v_fma_f32 v3, v47, v52, -v3
	ds_write2_b64 v4, v[0:1], v[2:3] offset0:106 offset1:155
	s_waitcnt vmcnt(8)
	v_mul_f32_e32 v0, v51, v55
	v_mul_f32_e32 v1, v50, v55
	v_fmac_f32_e32 v0, v50, v54
	v_fma_f32 v1, v51, v54, -v1
	v_add_u32_e32 v4, 0x1000, v71
	s_waitcnt vmcnt(5)
	v_mul_f32_e32 v2, v58, v62
	v_mul_f32_e32 v3, v57, v62
	v_fmac_f32_e32 v2, v57, v61
	v_fma_f32 v3, v58, v61, -v3
	ds_write2_b64 v4, v[0:1], v[2:3] offset0:76 offset1:125
	s_waitcnt vmcnt(4)
	v_mul_f32_e32 v0, v60, v64
	v_mul_f32_e32 v1, v59, v64
	s_waitcnt vmcnt(2)
	v_mul_f32_e32 v2, v66, v68
	v_mul_f32_e32 v3, v65, v68
	v_fmac_f32_e32 v0, v59, v63
	v_fma_f32 v1, v60, v63, -v1
	v_fmac_f32_e32 v2, v65, v67
	v_fma_f32 v3, v66, v67, -v3
	ds_write2_b64 v4, v[0:1], v[2:3] offset0:174 offset1:223
	s_waitcnt vmcnt(0)
	v_mul_f32_e32 v0, v70, v74
	v_mul_f32_e32 v1, v69, v74
	v_fmac_f32_e32 v0, v69, v73
	v_fma_f32 v1, v70, v73, -v1
	ds_write_b64 v71, v[0:1] offset:6272
.LBB0_3:
	s_or_b64 exec, exec, s[6:7]
	s_load_dwordx2 s[6:7], s[4:5], 0x20
	s_load_dwordx2 s[2:3], s[4:5], 0x8
	v_mov_b32_e32 v16, 0
	v_mov_b32_e32 v17, 0
	s_waitcnt lgkmcnt(0)
	s_barrier
	s_waitcnt lgkmcnt(0)
                                        ; implicit-def: $vgpr22
                                        ; implicit-def: $vgpr28
                                        ; implicit-def: $vgpr44
                                        ; implicit-def: $vgpr48
                                        ; implicit-def: $vgpr12
                                        ; implicit-def: $vgpr42
                                        ; implicit-def: $vgpr38
                                        ; implicit-def: $vgpr34
	s_and_saveexec_b64 s[4:5], s[0:1]
	s_cbranch_execz .LBB0_5
; %bb.4:
	v_add_u32_e32 v0, 0x800, v71
	ds_read2_b64 v[16:19], v71 offset1:49
	ds_read2_b64 v[32:35], v71 offset0:98 offset1:147
	ds_read2_b64 v[36:39], v71 offset0:196 offset1:245
	;; [unrolled: 1-line block ×4, first 2 shown]
	v_add_u32_e32 v0, 0xc00, v71
	ds_read2_b64 v[28:31], v0 offset0:106 offset1:155
	v_add_u32_e32 v0, 0x1000, v71
	ds_read2_b64 v[44:47], v0 offset0:76 offset1:125
	ds_read2_b64 v[48:51], v0 offset0:174 offset1:223
	ds_read_b64 v[12:13], v71 offset:6272
.LBB0_5:
	s_or_b64 exec, exec, s[4:5]
	s_waitcnt lgkmcnt(0)
	v_sub_f32_e32 v24, v19, v13
	v_mul_f32_e32 v52, 0xbeb8f4ab, v24
	v_sub_f32_e32 v25, v33, v51
	v_add_f32_e32 v63, v12, v18
	v_mov_b32_e32 v0, v52
	v_mul_f32_e32 v53, 0xbf2c7751, v25
	v_fmac_f32_e32 v0, 0x3f6eb680, v63
	v_add_f32_e32 v67, v50, v32
	v_mov_b32_e32 v1, v53
	v_sub_f32_e32 v26, v18, v12
	v_add_f32_e32 v64, v13, v19
	v_add_f32_e32 v0, v0, v16
	v_fmac_f32_e32 v1, 0x3f3d2fb0, v67
	s_mov_b32 s4, 0x3f6eb680
	v_mul_f32_e32 v54, 0xbeb8f4ab, v26
	v_sub_f32_e32 v27, v32, v50
	v_add_f32_e32 v0, v1, v0
	v_fma_f32 v1, v64, s4, -v54
	s_mov_b32 s5, 0x3f3d2fb0
	v_add_f32_e32 v68, v51, v33
	v_mul_f32_e32 v55, 0xbf2c7751, v27
	v_sub_f32_e32 v73, v35, v49
	v_add_f32_e32 v1, v1, v17
	v_fma_f32 v2, v68, s5, -v55
	v_mul_f32_e32 v59, 0xbf65296c, v73
	v_add_f32_e32 v1, v2, v1
	v_add_f32_e32 v70, v48, v34
	v_mov_b32_e32 v2, v59
	v_sub_f32_e32 v82, v34, v48
	v_fmac_f32_e32 v2, 0x3ee437d1, v70
	s_mov_b32 s12, 0x3ee437d1
	v_add_f32_e32 v75, v49, v35
	v_mul_f32_e32 v60, 0xbf65296c, v82
	v_sub_f32_e32 v89, v37, v47
	v_add_f32_e32 v0, v2, v0
	v_fma_f32 v2, v75, s12, -v60
	v_mul_f32_e32 v61, 0xbf7ee86f, v89
	v_add_f32_e32 v1, v2, v1
	v_add_f32_e32 v77, v46, v36
	v_mov_b32_e32 v2, v61
	v_sub_f32_e32 v92, v36, v46
	v_fmac_f32_e32 v2, 0x3dbcf732, v77
	;; [unrolled: 12-line block ×5, first 2 shown]
	s_mov_b32 s16, 0xbf59a7d5
	v_add_f32_e32 v106, v29, v43
	v_mul_f32_e32 v79, 0xbf06c442, v178
	v_sub_f32_e32 v179, v21, v23
	v_add_f32_e32 v0, v2, v0
	v_fma_f32 v2, v106, s16, -v79
	v_mul_f32_e32 v80, 0xbe3c28d5, v179
	v_add_f32_e32 v1, v2, v1
	v_add_f32_e32 v117, v22, v20
	v_mov_b32_e32 v2, v80
	v_sub_f32_e32 v180, v20, v22
	s_mov_b32 s17, 0xbf7ba420
	v_fmac_f32_e32 v2, 0xbf7ba420, v117
	v_add_f32_e32 v120, v23, v21
	v_mul_f32_e32 v84, 0xbe3c28d5, v180
	v_add_f32_e32 v57, v2, v0
	v_fma_f32 v0, v120, s17, -v84
	v_mul_f32_e32 v85, 0xbf2c7751, v24
	v_add_f32_e32 v58, v0, v1
	v_mov_b32_e32 v0, v85
	v_mul_f32_e32 v86, 0xbf7ee86f, v25
	v_fmac_f32_e32 v0, 0x3f3d2fb0, v63
	v_mov_b32_e32 v1, v86
	v_add_f32_e32 v0, v0, v16
	v_fmac_f32_e32 v1, 0x3dbcf732, v67
	v_mul_f32_e32 v94, 0xbf2c7751, v26
	v_add_f32_e32 v0, v1, v0
	v_fma_f32 v1, v64, s5, -v94
	v_mul_f32_e32 v95, 0xbf7ee86f, v27
	v_add_f32_e32 v1, v1, v17
	v_fma_f32 v2, v68, s13, -v95
	v_mul_f32_e32 v88, 0xbf4c4adb, v73
	v_add_f32_e32 v1, v2, v1
	v_mov_b32_e32 v2, v88
	v_fmac_f32_e32 v2, 0xbf1a4643, v70
	v_mul_f32_e32 v97, 0xbf4c4adb, v82
	v_add_f32_e32 v0, v2, v0
	v_fma_f32 v2, v75, s15, -v97
	v_mul_f32_e32 v90, 0xbe3c28d5, v89
	v_add_f32_e32 v1, v2, v1
	v_mov_b32_e32 v2, v90
	v_fmac_f32_e32 v2, 0xbf7ba420, v77
	;; [unrolled: 7-line block ×6, first 2 shown]
	v_mul_f32_e32 v104, 0x3eb8f4ab, v180
	v_mul_f32_e32 v109, 0xbf65296c, v24
	v_fma_f32 v3, v120, s4, -v104
	v_add_f32_e32 v2, v2, v0
	v_mov_b32_e32 v0, v109
	v_mul_f32_e32 v110, 0xbf4c4adb, v25
	v_add_f32_e32 v3, v3, v1
	v_fmac_f32_e32 v0, 0x3ee437d1, v63
	v_mov_b32_e32 v1, v110
	v_add_f32_e32 v0, v0, v16
	v_fmac_f32_e32 v1, 0xbf1a4643, v67
	v_mul_f32_e32 v111, 0x3e3c28d5, v73
	v_add_f32_e32 v0, v1, v0
	v_mov_b32_e32 v1, v111
	v_fmac_f32_e32 v1, 0xbf7ba420, v70
	v_mul_f32_e32 v112, 0x3f763a35, v89
	v_add_f32_e32 v0, v1, v0
	v_mov_b32_e32 v1, v112
	v_fmac_f32_e32 v1, 0xbe8c1d8e, v77
	v_mul_f32_e32 v113, 0x3f2c7751, v107
	v_add_f32_e32 v0, v1, v0
	v_mov_b32_e32 v1, v113
	v_fmac_f32_e32 v1, 0x3f3d2fb0, v81
	v_mul_f32_e32 v114, 0xbeb8f4ab, v127
	v_add_f32_e32 v0, v1, v0
	v_mov_b32_e32 v1, v114
	v_fmac_f32_e32 v1, 0x3f6eb680, v87
	v_mul_f32_e32 v115, 0xbf7ee86f, v177
	v_add_f32_e32 v0, v1, v0
	v_mov_b32_e32 v1, v115
	v_fmac_f32_e32 v1, 0x3dbcf732, v105
	v_mul_f32_e32 v116, 0xbf06c442, v179
	v_add_f32_e32 v0, v1, v0
	v_mov_b32_e32 v1, v116
	v_fmac_f32_e32 v1, 0xbf59a7d5, v117
	v_mul_f32_e32 v118, 0xbf65296c, v26
	v_add_f32_e32 v0, v1, v0
	v_fma_f32 v1, v64, s12, -v118
	v_mul_f32_e32 v119, 0xbf4c4adb, v27
	v_add_f32_e32 v1, v1, v17
	v_fma_f32 v4, v68, s15, -v119
	;; [unrolled: 3-line block ×8, first 2 shown]
	v_mul_f32_e32 v129, 0xbf7ee86f, v24
	v_add_f32_e32 v1, v4, v1
	v_mov_b32_e32 v4, v129
	v_mul_f32_e32 v130, 0xbe3c28d5, v25
	v_fmac_f32_e32 v4, 0x3dbcf732, v63
	v_mov_b32_e32 v5, v130
	v_add_f32_e32 v4, v4, v16
	v_fmac_f32_e32 v5, 0xbf7ba420, v67
	v_mul_f32_e32 v134, 0xbf7ee86f, v26
	v_add_f32_e32 v4, v5, v4
	v_fma_f32 v5, v64, s13, -v134
	v_mul_f32_e32 v135, 0xbe3c28d5, v27
	v_add_f32_e32 v5, v5, v17
	v_fma_f32 v6, v68, s17, -v135
	v_mul_f32_e32 v131, 0x3f763a35, v73
	v_add_f32_e32 v5, v6, v5
	v_mov_b32_e32 v6, v131
	v_fmac_f32_e32 v6, 0xbe8c1d8e, v70
	v_mul_f32_e32 v137, 0x3f763a35, v82
	v_add_f32_e32 v4, v6, v4
	v_fma_f32 v6, v75, s14, -v137
	v_mul_f32_e32 v132, 0x3eb8f4ab, v89
	v_add_f32_e32 v5, v6, v5
	v_mov_b32_e32 v6, v132
	v_fmac_f32_e32 v6, 0x3f6eb680, v77
	;; [unrolled: 7-line block ×6, first 2 shown]
	v_mul_f32_e32 v144, 0x3f2c7751, v180
	v_mul_f32_e32 v145, 0xbf763a35, v24
	v_fma_f32 v7, v120, s5, -v144
	v_add_f32_e32 v6, v6, v4
	v_mov_b32_e32 v4, v145
	v_mul_f32_e32 v146, 0x3f06c442, v25
	v_add_f32_e32 v7, v7, v5
	v_fmac_f32_e32 v4, 0xbe8c1d8e, v63
	v_mov_b32_e32 v5, v146
	v_add_f32_e32 v4, v4, v16
	v_fmac_f32_e32 v5, 0xbf59a7d5, v67
	v_mul_f32_e32 v147, 0x3f2c7751, v73
	v_add_f32_e32 v4, v5, v4
	v_mov_b32_e32 v5, v147
	v_fmac_f32_e32 v5, 0x3f3d2fb0, v70
	v_mul_f32_e32 v148, 0xbf65296c, v89
	v_add_f32_e32 v4, v5, v4
	v_mov_b32_e32 v5, v148
	;; [unrolled: 4-line block ×6, first 2 shown]
	v_fmac_f32_e32 v5, 0xbf1a4643, v117
	v_mul_f32_e32 v153, 0xbf763a35, v26
	v_add_f32_e32 v4, v5, v4
	v_fma_f32 v5, v64, s14, -v153
	v_mul_f32_e32 v154, 0x3f06c442, v27
	v_add_f32_e32 v5, v5, v17
	v_fma_f32 v8, v68, s16, -v154
	;; [unrolled: 3-line block ×8, first 2 shown]
	v_mul_f32_e32 v161, 0xbf4c4adb, v24
	v_add_f32_e32 v5, v8, v5
	v_mov_b32_e32 v8, v161
	v_mul_f32_e32 v162, 0x3f763a35, v25
	v_fmac_f32_e32 v8, 0xbf1a4643, v63
	v_mov_b32_e32 v9, v162
	v_add_f32_e32 v8, v8, v16
	v_fmac_f32_e32 v9, 0xbe8c1d8e, v67
	v_mul_f32_e32 v166, 0xbf4c4adb, v26
	v_add_f32_e32 v8, v9, v8
	v_fma_f32 v9, v64, s15, -v166
	v_mul_f32_e32 v167, 0x3f763a35, v27
	v_add_f32_e32 v9, v9, v17
	v_fma_f32 v10, v68, s14, -v167
	v_mul_f32_e32 v163, 0xbeb8f4ab, v73
	v_add_f32_e32 v9, v10, v9
	v_mov_b32_e32 v10, v163
	v_fmac_f32_e32 v10, 0x3f6eb680, v70
	v_mul_f32_e32 v169, 0xbeb8f4ab, v82
	v_add_f32_e32 v8, v10, v8
	v_fma_f32 v10, v75, s4, -v169
	v_mul_f32_e32 v164, 0xbf06c442, v89
	v_add_f32_e32 v9, v10, v9
	v_mov_b32_e32 v10, v164
	v_fmac_f32_e32 v10, 0xbf59a7d5, v77
	v_mul_f32_e32 v171, 0xbf06c442, v92
	v_add_f32_e32 v8, v10, v8
	v_fma_f32 v10, v78, s16, -v171
	v_mul_f32_e32 v165, 0x3f7ee86f, v107
	v_add_f32_e32 v9, v10, v9
	v_mov_b32_e32 v10, v165
	v_fmac_f32_e32 v10, 0x3dbcf732, v81
	v_mul_f32_e32 v173, 0x3f7ee86f, v108
	v_add_f32_e32 v8, v10, v8
	v_fma_f32 v10, v83, s13, -v173
	v_mul_f32_e32 v168, 0xbf2c7751, v127
	v_add_f32_e32 v9, v10, v9
	v_mov_b32_e32 v10, v168
	v_fmac_f32_e32 v10, 0x3f3d2fb0, v87
	v_mul_f32_e32 v174, 0xbf2c7751, v128
	v_add_f32_e32 v8, v10, v8
	v_fma_f32 v10, v91, s5, -v174
	v_mul_f32_e32 v170, 0xbe3c28d5, v177
	v_add_f32_e32 v9, v10, v9
	v_mov_b32_e32 v10, v170
	v_fmac_f32_e32 v10, 0xbf7ba420, v105
	v_mul_f32_e32 v175, 0xbe3c28d5, v178
	v_add_f32_e32 v8, v10, v8
	v_fma_f32 v10, v106, s17, -v175
	v_mul_f32_e32 v172, 0x3f65296c, v179
	v_add_f32_e32 v9, v10, v9
	v_mov_b32_e32 v10, v172
	v_fmac_f32_e32 v10, 0x3ee437d1, v117
	v_mul_f32_e32 v176, 0x3f65296c, v180
	v_fma_f32 v11, v120, s12, -v176
	v_add_f32_e32 v10, v10, v8
	v_mul_f32_e32 v8, 0xbf06c442, v24
	v_add_f32_e32 v11, v11, v9
	v_fma_f32 v9, v63, s16, -v8
	v_mul_f32_e32 v181, 0x3f65296c, v25
	v_add_f32_e32 v9, v9, v16
	v_fma_f32 v14, v67, s12, -v181
	v_mul_f32_e32 v182, 0xbf06c442, v26
	v_add_f32_e32 v9, v14, v9
	v_mov_b32_e32 v14, v182
	v_mul_f32_e32 v183, 0x3f65296c, v27
	v_fmac_f32_e32 v14, 0xbf59a7d5, v64
	v_mov_b32_e32 v15, v183
	v_add_f32_e32 v14, v14, v17
	v_fmac_f32_e32 v15, 0x3ee437d1, v68
	v_mul_f32_e32 v184, 0xbf7ee86f, v73
	v_add_f32_e32 v14, v15, v14
	v_fma_f32 v15, v70, s13, -v184
	v_mul_f32_e32 v185, 0xbf7ee86f, v82
	v_add_f32_e32 v9, v15, v9
	v_mov_b32_e32 v15, v185
	v_fmac_f32_e32 v15, 0x3dbcf732, v75
	v_mul_f32_e32 v186, 0x3f4c4adb, v89
	v_add_f32_e32 v14, v15, v14
	v_fma_f32 v15, v77, s15, -v186
	v_mul_f32_e32 v187, 0x3f4c4adb, v92
	v_add_f32_e32 v9, v15, v9
	v_mov_b32_e32 v15, v187
	;; [unrolled: 7-line block ×5, first 2 shown]
	v_fmac_f32_e32 v15, 0x3f3d2fb0, v106
	v_mul_f32_e32 v196, 0xbf763a35, v179
	v_add_f32_e32 v15, v15, v14
	v_fma_f32 v14, v117, s14, -v196
	v_fmac_f32_e32 v8, 0xbf59a7d5, v63
	v_add_f32_e32 v14, v14, v9
	v_add_f32_e32 v8, v8, v16
	v_fmac_f32_e32 v181, 0x3ee437d1, v67
	v_fma_f32 v9, v64, s16, -v182
	v_add_f32_e32 v8, v181, v8
	v_add_f32_e32 v9, v9, v17
	v_fma_f32 v181, v68, s12, -v183
	v_add_f32_e32 v9, v181, v9
	v_fma_f32 v181, v75, s13, -v185
	v_add_f32_e32 v9, v181, v9
	v_fma_f32 v181, v78, s15, -v187
	v_add_f32_e32 v9, v181, v9
	v_fma_f32 v181, v83, s4, -v189
	v_add_f32_e32 v9, v181, v9
	v_fma_f32 v181, v91, s17, -v191
	v_mul_f32_e32 v194, 0xbf763a35, v180
	v_add_f32_e32 v9, v181, v9
	v_fma_f32 v181, v106, s5, -v193
	v_add_f32_e32 v9, v181, v9
	v_fma_f32 v181, v120, s14, -v194
	v_add_f32_e32 v9, v181, v9
	v_mul_f32_e32 v181, 0xbe3c28d5, v24
	v_fma_f32 v24, v63, s17, -v181
	v_mul_f32_e32 v182, 0x3eb8f4ab, v25
	v_add_f32_e32 v24, v24, v16
	v_fma_f32 v25, v67, s4, -v182
	v_mul_f32_e32 v183, 0xbe3c28d5, v26
	v_add_f32_e32 v24, v25, v24
	v_mov_b32_e32 v25, v183
	v_mul_f32_e32 v27, 0x3eb8f4ab, v27
	v_fmac_f32_e32 v25, 0xbf7ba420, v64
	v_mov_b32_e32 v26, v27
	v_add_f32_e32 v25, v25, v17
	v_fmac_f32_e32 v26, 0x3f6eb680, v68
	v_add_f32_e32 v25, v26, v25
	v_mul_f32_e32 v26, 0xbf06c442, v73
	v_fma_f32 v73, v70, s16, -v26
	v_add_f32_e32 v24, v73, v24
	v_mul_f32_e32 v73, 0xbf06c442, v82
	v_mov_b32_e32 v82, v73
	v_fmac_f32_e32 v82, 0xbf59a7d5, v75
	v_add_f32_e32 v25, v82, v25
	v_mul_f32_e32 v82, 0x3f2c7751, v89
	v_fma_f32 v89, v77, s5, -v82
	v_add_f32_e32 v24, v89, v24
	v_mul_f32_e32 v89, 0x3f2c7751, v92
	v_mov_b32_e32 v92, v89
	;; [unrolled: 7-line block ×5, first 2 shown]
	v_fmac_f32_e32 v178, 0xbe8c1d8e, v106
	v_add_f32_e32 v25, v178, v25
	v_mul_f32_e32 v178, 0x3f7ee86f, v179
	v_mul_f32_e32 v179, 0x3f7ee86f, v180
	v_mov_b32_e32 v180, v179
	v_fmac_f32_e32 v180, 0x3dbcf732, v120
	v_fmac_f32_e32 v181, 0xbf7ba420, v63
	v_add_f32_e32 v25, v180, v25
	v_add_f32_e32 v180, v181, v16
	v_fmac_f32_e32 v182, 0x3f6eb680, v67
	v_add_f32_e32 v180, v182, v180
	v_fmac_f32_e32 v26, 0xbf59a7d5, v70
	;; [unrolled: 2-line block ×3, first 2 shown]
	v_add_f32_e32 v26, v82, v26
	v_fma_f32 v82, v64, s17, -v183
	v_add_f32_e32 v82, v82, v17
	v_fma_f32 v27, v68, s4, -v27
	v_fmac_f32_e32 v184, 0x3dbcf732, v70
	v_add_f32_e32 v27, v27, v82
	v_fma_f32 v73, v75, s16, -v73
	v_add_f32_e32 v8, v184, v8
	v_fmac_f32_e32 v186, 0xbf1a4643, v77
	v_add_f32_e32 v27, v73, v27
	v_fma_f32 v73, v78, s5, -v89
	v_add_f32_e32 v8, v186, v8
	v_fmac_f32_e32 v188, 0x3f6eb680, v81
	v_fmac_f32_e32 v92, 0xbf1a4643, v81
	v_add_f32_e32 v27, v73, v27
	v_fma_f32 v73, v83, s15, -v107
	v_add_f32_e32 v8, v188, v8
	v_fmac_f32_e32 v190, 0xbf7ba420, v87
	v_add_f32_e32 v26, v92, v26
	v_fmac_f32_e32 v108, 0x3ee437d1, v87
	v_add_f32_e32 v27, v73, v27
	v_fma_f32 v73, v91, s12, -v127
	v_mov_b32_e32 v195, v194
	v_add_f32_e32 v8, v190, v8
	v_fmac_f32_e32 v192, 0x3f3d2fb0, v105
	v_add_f32_e32 v26, v108, v26
	v_fmac_f32_e32 v128, 0xbe8c1d8e, v105
	v_add_f32_e32 v27, v73, v27
	v_fma_f32 v73, v106, s14, -v177
	v_fmac_f32_e32 v195, 0xbe8c1d8e, v120
	v_add_f32_e32 v8, v192, v8
	v_fmac_f32_e32 v196, 0xbe8c1d8e, v117
	v_fma_f32 v184, v117, s13, -v178
	v_add_f32_e32 v26, v128, v26
	v_fmac_f32_e32 v178, 0x3dbcf732, v117
	v_add_f32_e32 v27, v73, v27
	v_fma_f32 v73, v120, s13, -v179
	v_add_f32_e32 v15, v195, v15
	v_add_f32_e32 v8, v196, v8
	;; [unrolled: 1-line block ×5, first 2 shown]
	v_mul_lo_u16_e32 v73, 17, v72
	s_barrier
	s_and_saveexec_b64 s[4:5], s[0:1]
	s_cbranch_execz .LBB0_7
; %bb.6:
	v_mul_f32_e32 v89, 0x3f6eb680, v63
	v_mul_f32_e32 v107, 0x3f3d2fb0, v63
	;; [unrolled: 1-line block ×18, first 2 shown]
	v_sub_f32_e32 v63, v63, v161
	v_mul_f32_e32 v181, 0x3f3d2fb0, v68
	v_mul_f32_e32 v183, 0x3dbcf732, v68
	;; [unrolled: 1-line block ×12, first 2 shown]
	v_add_f32_e32 v64, v166, v64
	v_add_f32_e32 v63, v63, v16
	v_sub_f32_e32 v67, v67, v162
	v_mul_f32_e32 v191, 0x3ee437d1, v75
	v_mul_f32_e32 v193, 0xbf1a4643, v75
	v_mul_f32_e32 v195, 0xbf7ba420, v75
	v_mul_f32_e32 v197, 0xbe8c1d8e, v75
	v_mul_f32_e32 v199, 0x3f3d2fb0, v75
	v_mul_f32_e32 v75, 0x3f6eb680, v75
	v_mul_f32_e32 v200, 0x3dbcf732, v77
	v_mul_f32_e32 v202, 0xbf7ba420, v77
	v_mul_f32_e32 v204, 0xbe8c1d8e, v77
	v_mul_f32_e32 v206, 0x3f6eb680, v77
	v_mul_f32_e32 v208, 0x3ee437d1, v77
	v_mul_f32_e32 v77, 0xbf59a7d5, v77
	v_add_f32_e32 v64, v64, v17
	v_add_f32_e32 v68, v167, v68
	v_add_f32_e32 v63, v67, v63
	v_sub_f32_e32 v67, v70, v163
	v_mul_f32_e32 v201, 0x3dbcf732, v78
	v_mul_f32_e32 v203, 0xbf7ba420, v78
	v_mul_f32_e32 v205, 0xbe8c1d8e, v78
	v_mul_f32_e32 v207, 0x3f6eb680, v78
	v_mul_f32_e32 v209, 0x3ee437d1, v78
	v_mul_f32_e32 v78, 0xbf59a7d5, v78
	v_mul_f32_e32 v210, 0xbe8c1d8e, v81
	v_mul_f32_e32 v212, 0xbf59a7d5, v81
	v_mul_f32_e32 v214, 0x3f3d2fb0, v81
	v_mul_f32_e32 v216, 0x3ee437d1, v81
	v_mul_f32_e32 v218, 0xbf7ba420, v81
	v_mul_f32_e32 v81, 0x3dbcf732, v81
	v_add_f32_e32 v64, v68, v64
	;; [unrolled: 16-line block ×5, first 2 shown]
	v_add_f32_e32 v68, v174, v91
	v_add_f32_e32 v63, v67, v63
	v_sub_f32_e32 v67, v105, v170
	v_mul_f32_e32 v241, 0xbf7ba420, v120
	v_mul_f32_e32 v243, 0x3f6eb680, v120
	v_mul_f32_e32 v245, 0xbf59a7d5, v120
	v_mul_f32_e32 v247, 0x3f3d2fb0, v120
	v_mul_f32_e32 v249, 0xbf1a4643, v120
	v_mul_f32_e32 v120, 0x3ee437d1, v120
	v_add_f32_e32 v64, v68, v64
	v_add_f32_e32 v68, v175, v106
	;; [unrolled: 1-line block ×3, first 2 shown]
	v_sub_f32_e32 v67, v117, v172
	v_add_f32_e32 v64, v68, v64
	v_add_f32_e32 v68, v176, v120
	;; [unrolled: 1-line block ×20, first 2 shown]
	v_sub_f32_e32 v67, v178, v145
	v_add_f32_e32 v67, v67, v16
	v_sub_f32_e32 v70, v188, v146
	v_add_f32_e32 v67, v70, v67
	v_sub_f32_e32 v70, v198, v147
	v_add_f32_e32 v67, v70, v67
	v_sub_f32_e32 v70, v208, v148
	v_add_f32_e32 v67, v70, v67
	v_sub_f32_e32 v70, v218, v149
	v_add_f32_e32 v67, v70, v67
	v_sub_f32_e32 v70, v228, v150
	v_add_f32_e32 v67, v70, v67
	v_sub_f32_e32 v70, v238, v151
	v_add_f32_e32 v67, v70, v67
	v_sub_f32_e32 v70, v248, v152
	v_add_f32_e32 v67, v70, v67
	v_add_f32_e32 v70, v134, v177
	v_add_f32_e32 v70, v70, v17
	v_add_f32_e32 v75, v135, v187
	v_add_f32_e32 v70, v75, v70
	v_add_f32_e32 v75, v137, v197
	v_add_f32_e32 v70, v75, v70
	v_add_f32_e32 v75, v139, v207
	v_add_f32_e32 v70, v75, v70
	v_add_f32_e32 v75, v141, v217
	v_add_f32_e32 v70, v75, v70
	v_add_f32_e32 v75, v142, v227
	v_add_f32_e32 v70, v75, v70
	v_add_f32_e32 v75, v143, v237
	v_add_f32_e32 v70, v75, v70
	v_add_f32_e32 v75, v144, v247
	v_add_f32_e32 v78, v75, v70
	v_sub_f32_e32 v70, v128, v129
	v_add_f32_e32 v70, v70, v16
	v_sub_f32_e32 v75, v186, v130
	v_add_f32_e32 v70, v75, v70
	v_sub_f32_e32 v75, v196, v131
	v_add_f32_e32 v70, v75, v70
	v_sub_f32_e32 v75, v206, v132
	v_add_f32_e32 v70, v75, v70
	v_sub_f32_e32 v75, v216, v133
	v_add_f32_e32 v70, v75, v70
	v_sub_f32_e32 v75, v226, v136
	v_add_f32_e32 v70, v75, v70
	v_sub_f32_e32 v75, v236, v138
	v_add_f32_e32 v70, v75, v70
	v_sub_f32_e32 v75, v246, v140
	v_add_f32_e32 v77, v75, v70
	v_add_f32_e32 v70, v118, v82
	v_add_f32_e32 v70, v70, v17
	v_add_f32_e32 v75, v119, v185
	v_add_f32_e32 v70, v75, v70
	v_add_f32_e32 v75, v121, v195
	v_add_f32_e32 v70, v75, v70
	v_add_f32_e32 v75, v122, v205
	v_add_f32_e32 v70, v75, v70
	v_add_f32_e32 v75, v123, v215
	v_add_f32_e32 v70, v75, v70
	v_add_f32_e32 v75, v124, v225
	v_add_f32_e32 v70, v75, v70
	v_add_f32_e32 v75, v125, v235
	v_add_f32_e32 v70, v75, v70
	v_add_f32_e32 v75, v126, v245
	v_add_f32_e32 v82, v75, v70
	v_sub_f32_e32 v70, v127, v109
	v_add_f32_e32 v70, v70, v16
	v_sub_f32_e32 v75, v184, v110
	v_add_f32_e32 v70, v75, v70
	v_sub_f32_e32 v75, v194, v111
	v_add_f32_e32 v70, v75, v70
	v_sub_f32_e32 v75, v204, v112
	v_add_f32_e32 v70, v75, v70
	v_sub_f32_e32 v75, v214, v113
	v_add_f32_e32 v70, v75, v70
	v_sub_f32_e32 v75, v224, v114
	v_add_f32_e32 v70, v75, v70
	v_sub_f32_e32 v75, v234, v115
	v_add_f32_e32 v70, v75, v70
	v_sub_f32_e32 v75, v244, v116
	v_add_f32_e32 v81, v75, v70
	v_add_f32_e32 v70, v94, v108
	v_add_f32_e32 v70, v70, v17
	v_add_f32_e32 v75, v95, v183
	v_add_f32_e32 v70, v75, v70
	v_add_f32_e32 v75, v97, v193
	v_add_f32_e32 v70, v75, v70
	v_add_f32_e32 v75, v99, v203
	v_add_f32_e32 v70, v75, v70
	v_add_f32_e32 v75, v101, v213
	v_add_f32_e32 v70, v75, v70
	v_add_f32_e32 v75, v102, v223
	v_add_f32_e32 v70, v75, v70
	v_add_f32_e32 v75, v103, v233
	v_add_f32_e32 v70, v75, v70
	v_add_f32_e32 v75, v104, v243
	v_add_f32_e32 v87, v75, v70
	v_sub_f32_e32 v70, v107, v85
	v_add_f32_e32 v54, v54, v92
	v_sub_f32_e32 v52, v89, v52
	v_add_f32_e32 v70, v70, v16
	v_add_f32_e32 v54, v54, v17
	;; [unrolled: 1-line block ×20, first 2 shown]
	v_sub_f32_e32 v53, v180, v53
	v_add_f32_e32 v17, v23, v17
	v_add_f32_e32 v16, v22, v16
	v_sub_f32_e32 v75, v182, v86
	v_add_f32_e32 v54, v55, v54
	v_add_f32_e32 v55, v60, v191
	v_add_f32_e32 v52, v53, v52
	v_sub_f32_e32 v53, v190, v59
	v_add_f32_e32 v17, v29, v17
	v_add_f32_e32 v16, v28, v16
	v_add_f32_e32 v70, v75, v70
	v_sub_f32_e32 v75, v192, v88
	v_add_f32_e32 v54, v55, v54
	v_add_f32_e32 v55, v62, v201
	v_add_f32_e32 v52, v53, v52
	v_sub_f32_e32 v53, v200, v61
	v_add_f32_e32 v17, v31, v17
	v_add_f32_e32 v16, v30, v16
	v_add_f32_e32 v70, v75, v70
	v_sub_f32_e32 v75, v202, v90
	v_add_f32_e32 v54, v55, v54
	v_add_f32_e32 v55, v66, v211
	v_add_f32_e32 v52, v53, v52
	v_sub_f32_e32 v53, v210, v65
	v_add_f32_e32 v17, v45, v17
	v_add_f32_e32 v16, v44, v16
	v_add_f32_e32 v70, v75, v70
	v_sub_f32_e32 v75, v212, v93
	v_add_f32_e32 v54, v55, v54
	v_add_f32_e32 v55, v74, v221
	v_add_f32_e32 v52, v53, v52
	v_sub_f32_e32 v53, v220, v69
	v_add_f32_e32 v17, v47, v17
	v_add_f32_e32 v16, v46, v16
	v_add_f32_e32 v70, v75, v70
	v_sub_f32_e32 v75, v222, v96
	v_add_f32_e32 v54, v55, v54
	v_add_f32_e32 v55, v79, v231
	v_add_f32_e32 v52, v53, v52
	v_sub_f32_e32 v53, v230, v76
	v_add_f32_e32 v17, v49, v17
	v_add_f32_e32 v16, v48, v16
	v_add_f32_e32 v70, v75, v70
	v_sub_f32_e32 v75, v232, v98
	v_add_f32_e32 v54, v55, v54
	v_add_f32_e32 v55, v84, v241
	v_add_f32_e32 v52, v53, v52
	v_sub_f32_e32 v53, v240, v80
	v_add_f32_e32 v17, v51, v17
	v_add_f32_e32 v16, v50, v16
	v_add_f32_e32 v70, v75, v70
	v_sub_f32_e32 v75, v242, v100
	v_add_f32_e32 v54, v55, v54
	v_add_f32_e32 v53, v53, v52
	v_add_f32_e32 v13, v13, v17
	;; [unrolled: 1-line block ×3, first 2 shown]
	v_lshlrev_b32_e32 v16, 3, v73
	v_add_f32_e32 v86, v75, v70
	ds_write2_b64 v16, v[12:13], v[53:54] offset1:1
	ds_write2_b64 v16, v[86:87], v[81:82] offset0:2 offset1:3
	ds_write2_b64 v16, v[77:78], v[67:68] offset0:4 offset1:5
	;; [unrolled: 1-line block ×7, first 2 shown]
	ds_write_b64 v16, v[57:58] offset:128
.LBB0_7:
	s_or_b64 exec, exec, s[4:5]
	s_movk_i32 s12, 0xf1
	v_mul_lo_u16_sdwa v12, v72, s12 dst_sel:DWORD dst_unused:UNUSED_PAD src0_sel:BYTE_0 src1_sel:DWORD
	v_lshrrev_b16_e32 v44, 12, v12
	v_mul_lo_u16_e32 v12, 17, v44
	v_sub_u16_e32 v12, v72, v12
	v_and_b32_e32 v45, 0xff, v12
	v_mul_u32_u24_e32 v12, 6, v45
	v_lshlrev_b32_e32 v12, 3, v12
	s_load_dwordx4 s[4:7], s[6:7], 0x0
	s_waitcnt lgkmcnt(0)
	s_barrier
	global_load_dwordx4 v[28:31], v12, s[2:3]
	global_load_dwordx4 v[20:23], v12, s[2:3] offset:16
	global_load_dwordx4 v[16:19], v12, s[2:3] offset:32
	v_add_u32_e32 v60, 0x400, v71
	v_add_u32_e32 v59, 0xc00, v71
	ds_read2_b64 v[32:35], v71 offset1:119
	ds_read_b64 v[12:13], v71 offset:5712
	ds_read2_b64 v[36:39], v60 offset0:110 offset1:229
	ds_read2_b64 v[40:43], v59 offset0:92 offset1:211
	s_mov_b32 s13, 0x3f3bfb3b
	s_mov_b32 s12, 0x3f5ff5aa
	;; [unrolled: 1-line block ×4, first 2 shown]
	v_mul_u32_u24_e32 v44, 0x77, v44
	v_add_lshl_u32 v74, v44, v45, 3
	s_waitcnt vmcnt(0) lgkmcnt(0)
	s_barrier
	v_mul_f32_e32 v46, v35, v29
	v_mul_f32_e32 v47, v34, v29
	;; [unrolled: 1-line block ×12, first 2 shown]
	v_fma_f32 v34, v34, v28, -v46
	v_fmac_f32_e32 v47, v35, v28
	v_fma_f32 v35, v36, v30, -v48
	v_fmac_f32_e32 v49, v37, v30
	v_fma_f32 v36, v38, v20, -v50
	v_fma_f32 v38, v42, v16, -v54
	v_fmac_f32_e32 v55, v43, v16
	v_fma_f32 v12, v12, v18, -v61
	v_fmac_f32_e32 v62, v13, v18
	v_fmac_f32_e32 v51, v39, v20
	v_fma_f32 v37, v40, v22, -v52
	v_fmac_f32_e32 v53, v41, v22
	v_add_f32_e32 v13, v34, v12
	v_add_f32_e32 v39, v47, v62
	;; [unrolled: 1-line block ×4, first 2 shown]
	v_sub_f32_e32 v12, v34, v12
	v_sub_f32_e32 v34, v47, v62
	;; [unrolled: 1-line block ×4, first 2 shown]
	v_add_f32_e32 v42, v36, v37
	v_add_f32_e32 v43, v51, v53
	v_sub_f32_e32 v36, v37, v36
	v_sub_f32_e32 v37, v53, v51
	v_add_f32_e32 v46, v40, v13
	v_add_f32_e32 v47, v41, v39
	v_sub_f32_e32 v48, v40, v13
	v_sub_f32_e32 v49, v41, v39
	;; [unrolled: 1-line block ×6, first 2 shown]
	v_add_f32_e32 v50, v36, v35
	v_add_f32_e32 v51, v37, v38
	v_add_f32_e32 v42, v42, v46
	v_add_f32_e32 v43, v43, v47
	v_sub_f32_e32 v52, v36, v35
	v_sub_f32_e32 v53, v37, v38
	;; [unrolled: 1-line block ×6, first 2 shown]
	v_add_f32_e32 v46, v50, v12
	v_add_f32_e32 v34, v51, v34
	v_mul_f32_e32 v47, 0x3f4a47b2, v13
	v_mul_f32_e32 v50, 0x3d64c772, v40
	;; [unrolled: 1-line block ×3, first 2 shown]
	v_add_f32_e32 v12, v32, v42
	v_add_f32_e32 v13, v33, v43
	v_mul_f32_e32 v39, 0x3f4a47b2, v39
	v_mul_f32_e32 v52, 0xbf08b237, v52
	;; [unrolled: 1-line block ×3, first 2 shown]
	v_fma_f32 v32, v48, s13, -v50
	v_fma_f32 v33, v49, s13, -v51
	v_mov_b32_e32 v50, v12
	v_mov_b32_e32 v51, v13
	v_mul_f32_e32 v54, 0x3f5ff5aa, v35
	v_mul_f32_e32 v55, 0x3f5ff5aa, v38
	v_fmac_f32_e32 v50, 0xbf955555, v42
	v_fmac_f32_e32 v51, 0xbf955555, v43
	v_fma_f32 v42, v48, s14, -v47
	v_fmac_f32_e32 v47, 0x3d64c772, v40
	v_fma_f32 v40, v49, s14, -v39
	;; [unrolled: 2-line block ×5, first 2 shown]
	v_fma_f32 v48, v37, s15, -v55
	v_add_f32_e32 v47, v47, v50
	v_add_f32_e32 v49, v39, v51
	v_fmac_f32_e32 v52, 0x3ee1c552, v46
	v_fmac_f32_e32 v53, 0x3ee1c552, v34
	v_add_f32_e32 v39, v32, v50
	v_add_f32_e32 v54, v33, v51
	;; [unrolled: 1-line block ×4, first 2 shown]
	v_fmac_f32_e32 v41, 0x3ee1c552, v46
	v_fmac_f32_e32 v38, 0x3ee1c552, v34
	;; [unrolled: 1-line block ×4, first 2 shown]
	v_add_f32_e32 v32, v53, v47
	v_sub_f32_e32 v33, v49, v52
	v_add_f32_e32 v34, v48, v42
	v_sub_f32_e32 v35, v50, v43
	v_sub_f32_e32 v36, v39, v38
	v_add_f32_e32 v37, v41, v54
	v_add_f32_e32 v38, v38, v39
	v_sub_f32_e32 v39, v54, v41
	v_sub_f32_e32 v40, v42, v48
	v_add_f32_e32 v41, v43, v50
	v_sub_f32_e32 v42, v47, v53
	v_add_f32_e32 v43, v52, v49
	ds_write2_b64 v74, v[12:13], v[32:33] offset1:17
	ds_write2_b64 v74, v[34:35], v[36:37] offset0:34 offset1:51
	ds_write2_b64 v74, v[38:39], v[40:41] offset0:68 offset1:85
	ds_write_b64 v74, v[42:43] offset:816
	v_mad_u64_u32 v[12:13], s[2:3], v72, 48, s[2:3]
	s_waitcnt lgkmcnt(0)
	s_barrier
	global_load_dwordx4 v[40:43], v[12:13], off offset:816
	global_load_dwordx4 v[36:39], v[12:13], off offset:832
	;; [unrolled: 1-line block ×3, first 2 shown]
	ds_read2_b64 v[44:47], v71 offset1:119
	ds_read2_b64 v[48:51], v60 offset0:110 offset1:229
	ds_read2_b64 v[52:55], v59 offset0:92 offset1:211
	ds_read_b64 v[12:13], v71 offset:5712
	s_waitcnt vmcnt(2) lgkmcnt(3)
	v_mul_f32_e32 v61, v47, v41
	v_mul_f32_e32 v62, v46, v41
	s_waitcnt lgkmcnt(2)
	v_mul_f32_e32 v63, v49, v43
	s_waitcnt vmcnt(1)
	v_mul_f32_e32 v65, v51, v37
	s_waitcnt vmcnt(0) lgkmcnt(1)
	v_mul_f32_e32 v69, v55, v33
	s_waitcnt lgkmcnt(0)
	v_mul_f32_e32 v75, v13, v35
	v_mul_f32_e32 v64, v48, v43
	;; [unrolled: 1-line block ×6, first 2 shown]
	v_fma_f32 v46, v46, v40, -v61
	v_fmac_f32_e32 v62, v47, v40
	v_fma_f32 v47, v48, v42, -v63
	v_fma_f32 v48, v50, v36, -v65
	;; [unrolled: 1-line block ×4, first 2 shown]
	v_mul_f32_e32 v68, v52, v39
	v_fmac_f32_e32 v64, v49, v42
	v_fma_f32 v49, v52, v38, -v67
	v_fmac_f32_e32 v70, v55, v32
	v_fmac_f32_e32 v76, v13, v34
	v_add_f32_e32 v13, v46, v12
	v_add_f32_e32 v52, v47, v50
	v_fmac_f32_e32 v66, v51, v36
	v_fmac_f32_e32 v68, v53, v38
	v_add_f32_e32 v51, v62, v76
	v_add_f32_e32 v53, v64, v70
	;; [unrolled: 1-line block ×4, first 2 shown]
	v_sub_f32_e32 v12, v46, v12
	v_sub_f32_e32 v46, v62, v76
	v_add_f32_e32 v55, v66, v68
	v_add_f32_e32 v62, v53, v51
	v_sub_f32_e32 v63, v52, v13
	v_sub_f32_e32 v13, v13, v54
	;; [unrolled: 1-line block ×3, first 2 shown]
	v_add_f32_e32 v54, v54, v61
	v_sub_f32_e32 v47, v47, v50
	v_sub_f32_e32 v50, v64, v70
	;; [unrolled: 1-line block ×7, first 2 shown]
	v_add_f32_e32 v55, v55, v62
	v_add_f32_e32 v44, v44, v54
	;; [unrolled: 1-line block ×4, first 2 shown]
	v_sub_f32_e32 v67, v48, v47
	v_sub_f32_e32 v68, v49, v50
	v_sub_f32_e32 v47, v47, v12
	v_sub_f32_e32 v50, v50, v46
	v_add_f32_e32 v45, v45, v55
	v_mov_b32_e32 v69, v44
	v_sub_f32_e32 v48, v12, v48
	v_sub_f32_e32 v49, v46, v49
	v_add_f32_e32 v12, v65, v12
	v_add_f32_e32 v46, v66, v46
	v_mul_f32_e32 v13, 0x3f4a47b2, v13
	v_mul_f32_e32 v51, 0x3f4a47b2, v51
	v_mul_f32_e32 v61, 0x3d64c772, v52
	v_mul_f32_e32 v62, 0x3d64c772, v53
	v_mul_f32_e32 v65, 0xbf08b237, v67
	v_mul_f32_e32 v66, 0xbf08b237, v68
	v_mul_f32_e32 v67, 0x3f5ff5aa, v47
	v_mul_f32_e32 v68, 0x3f5ff5aa, v50
	v_fmac_f32_e32 v69, 0xbf955555, v54
	v_mov_b32_e32 v54, v45
	v_fmac_f32_e32 v54, 0xbf955555, v55
	v_fma_f32 v55, v63, s13, -v61
	v_fma_f32 v61, v64, s13, -v62
	;; [unrolled: 1-line block ×3, first 2 shown]
	v_fmac_f32_e32 v13, 0x3d64c772, v52
	v_fma_f32 v52, v64, s14, -v51
	v_fmac_f32_e32 v51, 0x3d64c772, v53
	v_fma_f32 v53, v47, s12, -v65
	;; [unrolled: 2-line block ×4, first 2 shown]
	v_fma_f32 v67, v49, s15, -v68
	v_add_f32_e32 v13, v13, v69
	v_add_f32_e32 v68, v51, v54
	v_add_f32_e32 v55, v55, v69
	v_add_f32_e32 v61, v61, v54
	v_add_f32_e32 v62, v62, v69
	v_add_f32_e32 v69, v52, v54
	v_fmac_f32_e32 v65, 0x3ee1c552, v12
	v_fmac_f32_e32 v66, 0x3ee1c552, v46
	;; [unrolled: 1-line block ×6, first 2 shown]
	v_add_f32_e32 v46, v66, v13
	v_sub_f32_e32 v47, v68, v65
	v_add_f32_e32 v48, v67, v62
	v_sub_f32_e32 v49, v69, v64
	v_sub_f32_e32 v50, v55, v63
	v_add_f32_e32 v51, v53, v61
	v_add_f32_e32 v52, v63, v55
	v_sub_f32_e32 v53, v61, v53
	v_sub_f32_e32 v54, v62, v67
	v_add_f32_e32 v55, v64, v69
	v_sub_f32_e32 v12, v13, v66
	v_add_f32_e32 v13, v65, v68
	ds_write2_b64 v71, v[44:45], v[46:47] offset1:119
	ds_write2_b64 v60, v[48:49], v[50:51] offset0:110 offset1:229
	ds_write2_b64 v59, v[52:53], v[54:55] offset0:92 offset1:211
	ds_write_b64 v71, v[12:13] offset:5712
	s_waitcnt lgkmcnt(0)
	s_barrier
	s_and_saveexec_b64 s[2:3], s[0:1]
	s_cbranch_execz .LBB0_9
; %bb.8:
	v_mov_b32_e32 v60, s9
	v_add_co_u32_e32 v70, vcc, s8, v71
	v_addc_co_u32_e32 v77, vcc, 0, v60, vcc
	v_add_co_u32_e32 v60, vcc, 0x1a08, v70
	v_addc_co_u32_e32 v61, vcc, 0, v77, vcc
	global_load_dwordx2 v[64:65], v[60:61], off offset:392
	v_add_co_u32_e32 v62, vcc, 0x1000, v70
	v_addc_co_u32_e32 v63, vcc, 0, v77, vcc
	global_load_dwordx2 v[66:67], v[62:63], off offset:2568
	global_load_dwordx2 v[68:69], v[60:61], off offset:784
	;; [unrolled: 1-line block ×8, first 2 shown]
	s_movk_i32 s12, 0x2000
	v_add_co_u32_e32 v75, vcc, s12, v70
	v_addc_co_u32_e32 v76, vcc, 0, v77, vcc
	global_load_dwordx2 v[99:100], v[60:61], off offset:3528
	global_load_dwordx2 v[101:102], v[75:76], off offset:2784
	;; [unrolled: 1-line block ×5, first 2 shown]
	s_movk_i32 s12, 0x3000
	global_load_dwordx2 v[109:110], v[75:76], off offset:3960
	v_add_co_u32_e32 v75, vcc, s12, v70
	v_addc_co_u32_e32 v76, vcc, 0, v77, vcc
	global_load_dwordx2 v[111:112], v[75:76], off offset:256
	global_load_dwordx2 v[113:114], v[75:76], off offset:648
	ds_read2_b64 v[60:63], v71 offset1:49
	v_add_u32_e32 v117, 0x800, v71
	s_waitcnt vmcnt(16) lgkmcnt(0)
	v_mul_f32_e32 v70, v63, v65
	v_mul_f32_e32 v76, v62, v65
	s_waitcnt vmcnt(15)
	v_mul_f32_e32 v77, v61, v67
	v_mul_f32_e32 v65, v60, v67
	v_fma_f32 v75, v62, v64, -v70
	v_fmac_f32_e32 v76, v63, v64
	v_fma_f32 v64, v60, v66, -v77
	v_fmac_f32_e32 v65, v61, v66
	ds_write2_b64 v71, v[64:65], v[75:76] offset1:49
	ds_read2_b64 v[60:63], v71 offset0:98 offset1:147
	ds_read2_b64 v[64:67], v71 offset0:196 offset1:245
	;; [unrolled: 1-line block ×5, first 2 shown]
	s_waitcnt vmcnt(14) lgkmcnt(4)
	v_mul_f32_e32 v115, v61, v69
	v_mul_f32_e32 v70, v60, v69
	s_waitcnt vmcnt(13)
	v_mul_f32_e32 v118, v63, v88
	v_mul_f32_e32 v116, v62, v88
	s_waitcnt vmcnt(12) lgkmcnt(3)
	v_mul_f32_e32 v119, v65, v90
	v_mul_f32_e32 v88, v64, v90
	s_waitcnt vmcnt(11)
	v_mul_f32_e32 v120, v67, v92
	v_mul_f32_e32 v90, v66, v92
	;; [unrolled: 6-line block ×4, first 2 shown]
	v_fma_f32 v69, v60, v68, -v115
	v_fmac_f32_e32 v70, v61, v68
	v_fma_f32 v115, v62, v87, -v118
	v_fmac_f32_e32 v116, v63, v87
	;; [unrolled: 2-line block ×8, first 2 shown]
	ds_write2_b64 v71, v[69:70], v[115:116] offset0:98 offset1:147
	ds_write2_b64 v71, v[87:88], v[89:90] offset0:196 offset1:245
	;; [unrolled: 1-line block ×4, first 2 shown]
	v_add_u32_e32 v68, 0x1000, v71
	ds_read2_b64 v[60:63], v68 offset0:76 offset1:125
	s_waitcnt vmcnt(5) lgkmcnt(5)
	v_mul_f32_e32 v100, v84, v104
	v_mul_f32_e32 v65, v83, v104
	;; [unrolled: 1-line block ×4, first 2 shown]
	v_fma_f32 v64, v83, v103, -v100
	v_fmac_f32_e32 v65, v84, v103
	v_fma_f32 v66, v85, v101, -v66
	v_fmac_f32_e32 v67, v86, v101
	ds_write2_b64 v59, v[64:65], v[66:67] offset0:106 offset1:155
	s_waitcnt vmcnt(4) lgkmcnt(1)
	v_mul_f32_e32 v59, v61, v106
	v_fma_f32 v59, v60, v105, -v59
	v_mul_f32_e32 v60, v60, v106
	v_fmac_f32_e32 v60, v61, v105
	s_waitcnt vmcnt(3)
	v_mul_f32_e32 v61, v63, v108
	ds_read2_b64 v[64:67], v68 offset0:174 offset1:223
	v_fma_f32 v61, v62, v107, -v61
	v_mul_f32_e32 v62, v62, v108
	v_fmac_f32_e32 v62, v63, v107
	ds_write2_b64 v68, v[59:60], v[61:62] offset0:76 offset1:125
	ds_read_b64 v[61:62], v71 offset:6272
	s_waitcnt vmcnt(2) lgkmcnt(2)
	v_mul_f32_e32 v59, v65, v110
	v_fma_f32 v59, v64, v109, -v59
	v_mul_f32_e32 v60, v64, v110
	s_waitcnt vmcnt(1)
	v_mul_f32_e32 v63, v67, v112
	v_mul_f32_e32 v64, v66, v112
	v_fmac_f32_e32 v60, v65, v109
	v_fma_f32 v63, v66, v111, -v63
	v_fmac_f32_e32 v64, v67, v111
	ds_write2_b64 v68, v[59:60], v[63:64] offset0:174 offset1:223
	s_waitcnt vmcnt(0) lgkmcnt(1)
	v_mul_f32_e32 v59, v62, v114
	v_mul_f32_e32 v60, v61, v114
	v_fma_f32 v59, v61, v113, -v59
	v_fmac_f32_e32 v60, v62, v113
	ds_write_b64 v71, v[59:60] offset:6272
.LBB0_9:
	s_or_b64 exec, exec, s[2:3]
	s_waitcnt lgkmcnt(0)
	s_barrier
	s_and_saveexec_b64 s[2:3], s[0:1]
	s_cbranch_execz .LBB0_11
; %bb.10:
	v_add_u32_e32 v0, 0x800, v71
	ds_read2_b64 v[44:47], v71 offset1:49
	ds_read2_b64 v[48:51], v71 offset0:98 offset1:147
	ds_read2_b64 v[52:55], v71 offset0:196 offset1:245
	;; [unrolled: 1-line block ×4, first 2 shown]
	v_add_u32_e32 v0, 0xc00, v71
	ds_read2_b64 v[8:11], v0 offset0:106 offset1:155
	v_add_u32_e32 v0, 0x1000, v71
	ds_read2_b64 v[4:7], v0 offset0:76 offset1:125
	ds_read2_b64 v[0:3], v0 offset0:174 offset1:223
	ds_read_b64 v[57:58], v71 offset:6272
.LBB0_11:
	s_or_b64 exec, exec, s[2:3]
	s_waitcnt lgkmcnt(0)
	s_barrier
	s_and_saveexec_b64 s[2:3], s[0:1]
	s_cbranch_execz .LBB0_13
; %bb.12:
	v_add_f32_e32 v117, v58, v47
	v_mul_f32_e32 v91, 0xbf7ba420, v117
	v_add_f32_e32 v118, v3, v49
	v_sub_f32_e32 v75, v46, v57
	v_mov_b32_e32 v59, v91
	v_mul_f32_e32 v92, 0x3f6eb680, v118
	v_fmac_f32_e32 v59, 0x3e3c28d5, v75
	v_sub_f32_e32 v76, v48, v2
	v_mov_b32_e32 v60, v92
	v_add_f32_e32 v119, v1, v51
	v_add_f32_e32 v59, v45, v59
	v_fmac_f32_e32 v60, 0xbeb8f4ab, v76
	v_mul_f32_e32 v93, 0xbf59a7d5, v119
	v_add_f32_e32 v59, v60, v59
	v_sub_f32_e32 v77, v50, v0
	v_mov_b32_e32 v60, v93
	v_add_f32_e32 v120, v7, v53
	v_fmac_f32_e32 v60, 0x3f06c442, v77
	v_mul_f32_e32 v94, 0x3f3d2fb0, v120
	v_add_f32_e32 v59, v60, v59
	v_sub_f32_e32 v78, v52, v6
	v_mov_b32_e32 v60, v94
	;; [unrolled: 6-line block ×6, first 2 shown]
	v_sub_f32_e32 v125, v47, v58
	v_fmac_f32_e32 v60, 0xbf7ee86f, v82
	v_mul_f32_e32 v99, 0xbe3c28d5, v125
	v_sub_f32_e32 v126, v49, v3
	v_add_f32_e32 v60, v60, v59
	v_add_f32_e32 v83, v57, v46
	v_mov_b32_e32 v59, v99
	v_mul_f32_e32 v100, 0x3eb8f4ab, v126
	v_fmac_f32_e32 v59, 0xbf7ba420, v83
	v_add_f32_e32 v84, v2, v48
	v_mov_b32_e32 v61, v100
	v_sub_f32_e32 v127, v51, v1
	v_add_f32_e32 v59, v44, v59
	v_fmac_f32_e32 v61, 0x3f6eb680, v84
	v_mul_f32_e32 v101, 0xbf06c442, v127
	v_add_f32_e32 v59, v61, v59
	v_add_f32_e32 v85, v0, v50
	v_mov_b32_e32 v61, v101
	v_sub_f32_e32 v128, v53, v7
	v_fmac_f32_e32 v61, 0xbf59a7d5, v85
	v_mul_f32_e32 v102, 0x3f2c7751, v128
	v_add_f32_e32 v59, v61, v59
	v_add_f32_e32 v86, v6, v52
	v_mov_b32_e32 v61, v102
	v_sub_f32_e32 v129, v55, v5
	;; [unrolled: 6-line block ×5, first 2 shown]
	v_fmac_f32_e32 v61, 0xbe8c1d8e, v89
	v_mul_f32_e32 v106, 0x3f7ee86f, v132
	v_add_f32_e32 v59, v61, v59
	v_add_f32_e32 v90, v26, v24
	v_mov_b32_e32 v61, v106
	v_fmac_f32_e32 v61, 0x3dbcf732, v90
	v_mul_f32_e32 v107, 0xbf59a7d5, v117
	v_add_f32_e32 v59, v61, v59
	v_mov_b32_e32 v61, v107
	v_mul_f32_e32 v108, 0x3ee437d1, v118
	v_fmac_f32_e32 v61, 0x3f06c442, v75
	v_mov_b32_e32 v62, v108
	v_add_f32_e32 v61, v45, v61
	v_fmac_f32_e32 v62, 0xbf65296c, v76
	v_mul_f32_e32 v109, 0x3dbcf732, v119
	v_add_f32_e32 v61, v62, v61
	v_mov_b32_e32 v62, v109
	v_fmac_f32_e32 v62, 0x3f7ee86f, v77
	v_mul_f32_e32 v110, 0xbf1a4643, v120
	v_add_f32_e32 v61, v62, v61
	v_mov_b32_e32 v62, v110
	v_fmac_f32_e32 v62, 0xbf4c4adb, v78
	v_mul_f32_e32 v111, 0x3f6eb680, v121
	v_add_f32_e32 v61, v62, v61
	v_mov_b32_e32 v62, v111
	v_fmac_f32_e32 v62, 0x3eb8f4ab, v79
	v_mul_f32_e32 v112, 0xbf7ba420, v122
	v_add_f32_e32 v61, v62, v61
	v_mov_b32_e32 v62, v112
	v_fmac_f32_e32 v62, 0x3e3c28d5, v80
	v_mul_f32_e32 v113, 0x3f3d2fb0, v123
	v_add_f32_e32 v61, v62, v61
	v_mov_b32_e32 v62, v113
	v_fmac_f32_e32 v62, 0xbf2c7751, v81
	v_mul_f32_e32 v114, 0xbe8c1d8e, v124
	v_add_f32_e32 v61, v62, v61
	v_mov_b32_e32 v62, v114
	v_fmac_f32_e32 v62, 0x3f763a35, v82
	v_mul_f32_e32 v133, 0xbf06c442, v125
	v_add_f32_e32 v62, v62, v61
	v_mov_b32_e32 v61, v133
	v_mul_f32_e32 v134, 0x3f65296c, v126
	v_fmac_f32_e32 v61, 0xbf59a7d5, v83
	v_mov_b32_e32 v63, v134
	v_add_f32_e32 v61, v44, v61
	v_fmac_f32_e32 v63, 0x3ee437d1, v84
	v_mul_f32_e32 v135, 0xbf7ee86f, v127
	v_add_f32_e32 v61, v63, v61
	v_mov_b32_e32 v63, v135
	v_fmac_f32_e32 v63, 0x3dbcf732, v85
	v_mul_f32_e32 v136, 0x3f4c4adb, v128
	v_add_f32_e32 v61, v63, v61
	v_mov_b32_e32 v63, v136
	v_fmac_f32_e32 v63, 0xbf1a4643, v86
	v_mul_f32_e32 v137, 0xbeb8f4ab, v129
	v_add_f32_e32 v61, v63, v61
	v_mov_b32_e32 v63, v137
	v_fmac_f32_e32 v63, 0x3f6eb680, v87
	v_mul_f32_e32 v138, 0xbe3c28d5, v130
	v_add_f32_e32 v61, v63, v61
	v_mov_b32_e32 v63, v138
	v_fmac_f32_e32 v63, 0xbf7ba420, v88
	v_mul_f32_e32 v139, 0x3f2c7751, v131
	v_add_f32_e32 v61, v63, v61
	v_mov_b32_e32 v63, v139
	v_fmac_f32_e32 v63, 0x3f3d2fb0, v89
	v_mul_f32_e32 v140, 0xbf763a35, v132
	;; [unrolled: 32-line block ×4, first 2 shown]
	v_add_f32_e32 v63, v65, v63
	v_mov_b32_e32 v65, v156
	v_fmac_f32_e32 v65, 0x3ee437d1, v90
	v_mul_f32_e32 v157, 0xbe8c1d8e, v117
	v_add_f32_e32 v63, v65, v63
	v_mov_b32_e32 v65, v157
	v_mul_f32_e32 v158, 0xbf59a7d5, v118
	v_fmac_f32_e32 v65, 0x3f763a35, v75
	v_mov_b32_e32 v66, v158
	v_add_f32_e32 v65, v45, v65
	v_fmac_f32_e32 v66, 0xbf06c442, v76
	v_mul_f32_e32 v159, 0x3f3d2fb0, v119
	v_add_f32_e32 v65, v66, v65
	v_mov_b32_e32 v66, v159
	v_fmac_f32_e32 v66, 0xbf2c7751, v77
	v_mul_f32_e32 v160, 0x3ee437d1, v120
	v_add_f32_e32 v65, v66, v65
	v_mov_b32_e32 v66, v160
	;; [unrolled: 4-line block ×4, first 2 shown]
	v_add_f32_e32 v47, v47, v45
	v_fmac_f32_e32 v66, 0xbf7ee86f, v80
	v_mul_f32_e32 v163, 0x3f6eb680, v123
	v_add_f32_e32 v47, v49, v47
	v_add_f32_e32 v65, v66, v65
	v_mov_b32_e32 v66, v163
	v_add_f32_e32 v47, v51, v47
	v_fmac_f32_e32 v66, 0x3eb8f4ab, v81
	v_mul_f32_e32 v164, 0xbf1a4643, v124
	v_add_f32_e32 v47, v53, v47
	v_add_f32_e32 v65, v66, v65
	v_mov_b32_e32 v66, v164
	;; [unrolled: 6-line block ×3, first 2 shown]
	v_mul_f32_e32 v166, 0x3f06c442, v126
	v_add_f32_e32 v13, v15, v13
	v_fmac_f32_e32 v65, 0xbe8c1d8e, v83
	v_mov_b32_e32 v67, v166
	v_add_f32_e32 v13, v25, v13
	v_add_f32_e32 v65, v44, v65
	v_fmac_f32_e32 v67, 0xbf59a7d5, v84
	v_mul_f32_e32 v167, 0x3f2c7751, v127
	v_add_f32_e32 v13, v27, v13
	v_add_f32_e32 v65, v67, v65
	v_mov_b32_e32 v67, v167
	v_add_f32_e32 v9, v9, v13
	v_fmac_f32_e32 v67, 0x3f3d2fb0, v85
	v_mul_f32_e32 v168, 0xbf65296c, v128
	v_add_f32_e32 v9, v11, v9
	v_add_f32_e32 v65, v67, v65
	v_mov_b32_e32 v67, v168
	;; [unrolled: 6-line block ×3, first 2 shown]
	v_add_f32_e32 v1, v1, v5
	v_fmac_f32_e32 v67, 0xbf7ba420, v87
	v_mul_f32_e32 v170, 0x3f7ee86f, v130
	v_add_f32_e32 v1, v3, v1
	v_add_f32_e32 v3, v46, v44
	;; [unrolled: 1-line block ×3, first 2 shown]
	v_mov_b32_e32 v67, v170
	v_add_f32_e32 v3, v48, v3
	v_fmac_f32_e32 v67, 0x3dbcf732, v88
	v_mul_f32_e32 v171, 0xbeb8f4ab, v131
	v_add_f32_e32 v3, v50, v3
	v_add_f32_e32 v65, v67, v65
	v_mov_b32_e32 v67, v171
	v_add_f32_e32 v3, v52, v3
	v_fmac_f32_e32 v67, 0x3f6eb680, v89
	v_mul_f32_e32 v172, 0xbf4c4adb, v132
	v_add_f32_e32 v3, v54, v3
	v_add_f32_e32 v65, v67, v65
	;; [unrolled: 6-line block ×3, first 2 shown]
	v_mov_b32_e32 v67, v173
	v_mul_f32_e32 v174, 0xbf7ba420, v118
	v_add_f32_e32 v3, v24, v3
	v_fmac_f32_e32 v67, 0x3f7ee86f, v75
	v_mov_b32_e32 v68, v174
	v_add_f32_e32 v3, v26, v3
	v_add_f32_e32 v67, v45, v67
	v_fmac_f32_e32 v68, 0x3e3c28d5, v76
	v_mul_f32_e32 v175, 0xbe8c1d8e, v119
	v_add_f32_e32 v3, v8, v3
	v_add_f32_e32 v67, v68, v67
	v_mov_b32_e32 v68, v175
	v_add_f32_e32 v3, v10, v3
	v_fmac_f32_e32 v68, 0xbf763a35, v77
	v_mul_f32_e32 v176, 0x3f6eb680, v120
	v_add_f32_e32 v3, v4, v3
	v_add_f32_e32 v67, v68, v67
	v_mov_b32_e32 v68, v176
	v_add_f32_e32 v3, v6, v3
	v_fmac_f32_e32 v68, 0xbeb8f4ab, v78
	v_mul_f32_e32 v177, 0x3ee437d1, v121
	v_add_f32_e32 v0, v0, v3
	v_fmac_f32_e32 v91, 0xbe3c28d5, v75
	v_add_f32_e32 v67, v68, v67
	v_mov_b32_e32 v68, v177
	v_add_f32_e32 v0, v2, v0
	v_add_f32_e32 v2, v45, v91
	v_fmac_f32_e32 v92, 0x3eb8f4ab, v76
	v_fmac_f32_e32 v68, 0x3f65296c, v79
	v_mul_f32_e32 v178, 0xbf59a7d5, v122
	v_add_f32_e32 v2, v92, v2
	v_fmac_f32_e32 v93, 0xbf06c442, v77
	v_add_f32_e32 v67, v68, v67
	v_mov_b32_e32 v68, v178
	v_add_f32_e32 v2, v93, v2
	v_fmac_f32_e32 v94, 0x3f2c7751, v78
	v_fmac_f32_e32 v68, 0x3f06c442, v80
	v_mul_f32_e32 v179, 0xbf1a4643, v123
	v_add_f32_e32 v2, v94, v2
	v_fmac_f32_e32 v95, 0xbf4c4adb, v79
	v_add_f32_e32 v67, v68, v67
	v_mov_b32_e32 v68, v179
	v_add_f32_e32 v2, v95, v2
	v_fmac_f32_e32 v96, 0x3f65296c, v80
	v_fmac_f32_e32 v68, 0xbf4c4adb, v81
	v_mul_f32_e32 v180, 0x3f3d2fb0, v124
	v_add_f32_e32 v2, v96, v2
	v_fmac_f32_e32 v97, 0xbf763a35, v81
	s_mov_b32 s12, 0xbf7ba420
	v_add_f32_e32 v67, v68, v67
	v_mov_b32_e32 v68, v180
	v_add_f32_e32 v2, v97, v2
	v_fmac_f32_e32 v98, 0x3f7ee86f, v82
	s_mov_b32 s14, 0x3f6eb680
	v_fmac_f32_e32 v68, 0xbf2c7751, v82
	v_mul_f32_e32 v181, 0xbf7ee86f, v125
	v_add_f32_e32 v3, v98, v2
	v_fma_f32 v2, v83, s12, -v99
	s_mov_b32 s13, 0xbf59a7d5
	v_add_f32_e32 v68, v68, v67
	v_mov_b32_e32 v67, v181
	v_mul_f32_e32 v182, 0xbe3c28d5, v126
	v_add_f32_e32 v2, v44, v2
	v_fma_f32 v4, v84, s14, -v100
	s_mov_b32 s16, 0x3f3d2fb0
	v_fmac_f32_e32 v67, 0x3dbcf732, v83
	v_mov_b32_e32 v69, v182
	v_add_f32_e32 v2, v4, v2
	v_fma_f32 v4, v85, s13, -v101
	s_mov_b32 s15, 0xbf1a4643
	v_add_f32_e32 v67, v44, v67
	v_fmac_f32_e32 v69, 0xbf7ba420, v84
	v_mul_f32_e32 v183, 0x3f763a35, v127
	v_add_f32_e32 v2, v4, v2
	v_fma_f32 v4, v86, s16, -v102
	s_mov_b32 s17, 0x3ee437d1
	v_add_f32_e32 v67, v69, v67
	v_mov_b32_e32 v69, v183
	v_add_f32_e32 v2, v4, v2
	v_fma_f32 v4, v87, s15, -v103
	s_mov_b32 s18, 0xbe8c1d8e
	v_fmac_f32_e32 v69, 0xbe8c1d8e, v85
	v_mul_f32_e32 v184, 0x3eb8f4ab, v128
	v_add_f32_e32 v2, v4, v2
	v_fma_f32 v4, v88, s17, -v104
	s_mov_b32 s19, 0x3dbcf732
	v_add_f32_e32 v67, v69, v67
	v_mov_b32_e32 v69, v184
	v_add_f32_e32 v2, v4, v2
	v_fma_f32 v4, v89, s18, -v105
	v_fmac_f32_e32 v69, 0x3f6eb680, v86
	v_mul_f32_e32 v185, 0xbf65296c, v129
	v_add_f32_e32 v2, v4, v2
	v_fma_f32 v4, v90, s19, -v106
	v_fmac_f32_e32 v107, 0xbf06c442, v75
	v_add_f32_e32 v67, v69, v67
	v_mov_b32_e32 v69, v185
	v_add_f32_e32 v2, v4, v2
	v_add_f32_e32 v4, v45, v107
	v_fmac_f32_e32 v108, 0x3f65296c, v76
	v_fmac_f32_e32 v69, 0x3ee437d1, v87
	v_mul_f32_e32 v186, 0xbf06c442, v130
	v_add_f32_e32 v4, v108, v4
	v_fmac_f32_e32 v109, 0xbf7ee86f, v77
	v_add_f32_e32 v67, v69, v67
	v_mov_b32_e32 v69, v186
	v_add_f32_e32 v4, v109, v4
	v_fmac_f32_e32 v110, 0x3f4c4adb, v78
	v_fmac_f32_e32 v69, 0xbf59a7d5, v88
	v_mul_f32_e32 v187, 0x3f4c4adb, v131
	v_add_f32_e32 v4, v110, v4
	v_fmac_f32_e32 v111, 0xbeb8f4ab, v79
	v_add_f32_e32 v67, v69, v67
	v_mov_b32_e32 v69, v187
	v_add_f32_e32 v4, v111, v4
	v_fmac_f32_e32 v112, 0xbe3c28d5, v80
	v_fmac_f32_e32 v69, 0xbf1a4643, v89
	v_mul_f32_e32 v188, 0x3f2c7751, v132
	v_add_f32_e32 v4, v112, v4
	v_fmac_f32_e32 v113, 0x3f2c7751, v81
	v_add_f32_e32 v67, v69, v67
	v_mov_b32_e32 v69, v188
	v_add_f32_e32 v4, v113, v4
	v_fmac_f32_e32 v114, 0xbf763a35, v82
	v_fmac_f32_e32 v69, 0x3f3d2fb0, v90
	v_mul_f32_e32 v189, 0x3ee437d1, v117
	v_add_f32_e32 v5, v114, v4
	v_fma_f32 v4, v83, s13, -v133
	v_add_f32_e32 v67, v69, v67
	v_mov_b32_e32 v69, v189
	v_mul_f32_e32 v190, 0xbf1a4643, v118
	v_add_f32_e32 v4, v44, v4
	v_fma_f32 v6, v84, s17, -v134
	v_fmac_f32_e32 v69, 0x3f65296c, v75
	v_mov_b32_e32 v70, v190
	v_add_f32_e32 v4, v6, v4
	v_fma_f32 v6, v85, s19, -v135
	v_add_f32_e32 v69, v45, v69
	v_fmac_f32_e32 v70, 0x3f4c4adb, v76
	v_mul_f32_e32 v191, 0xbf7ba420, v119
	v_add_f32_e32 v4, v6, v4
	v_fma_f32 v6, v86, s15, -v136
	v_add_f32_e32 v69, v70, v69
	v_mov_b32_e32 v70, v191
	v_add_f32_e32 v4, v6, v4
	v_fma_f32 v6, v87, s14, -v137
	v_fmac_f32_e32 v70, 0xbe3c28d5, v77
	v_mul_f32_e32 v192, 0xbe8c1d8e, v120
	v_add_f32_e32 v4, v6, v4
	v_fma_f32 v6, v88, s12, -v138
	v_add_f32_e32 v69, v70, v69
	v_mov_b32_e32 v70, v192
	v_add_f32_e32 v4, v6, v4
	v_fma_f32 v6, v89, s16, -v139
	v_fmac_f32_e32 v70, 0xbf763a35, v78
	v_mul_f32_e32 v193, 0x3f3d2fb0, v121
	v_add_f32_e32 v4, v6, v4
	v_fma_f32 v6, v90, s18, -v140
	v_fmac_f32_e32 v141, 0xbf4c4adb, v75
	v_add_f32_e32 v69, v70, v69
	v_mov_b32_e32 v70, v193
	v_add_f32_e32 v4, v6, v4
	v_add_f32_e32 v6, v45, v141
	v_fmac_f32_e32 v142, 0x3f763a35, v76
	v_fmac_f32_e32 v70, 0xbf2c7751, v79
	v_mul_f32_e32 v194, 0x3f6eb680, v122
	v_add_f32_e32 v6, v142, v6
	v_fmac_f32_e32 v143, 0xbeb8f4ab, v77
	v_add_f32_e32 v69, v70, v69
	v_mov_b32_e32 v70, v194
	v_add_f32_e32 v6, v143, v6
	v_fmac_f32_e32 v144, 0xbf06c442, v78
	v_fmac_f32_e32 v70, 0x3eb8f4ab, v80
	v_mul_f32_e32 v195, 0x3dbcf732, v123
	v_add_f32_e32 v6, v144, v6
	v_fmac_f32_e32 v145, 0x3f7ee86f, v79
	v_add_f32_e32 v69, v70, v69
	v_mov_b32_e32 v70, v195
	v_add_f32_e32 v6, v145, v6
	v_fmac_f32_e32 v146, 0xbf2c7751, v80
	v_fmac_f32_e32 v70, 0x3f7ee86f, v81
	v_mul_f32_e32 v196, 0xbf59a7d5, v124
	v_add_f32_e32 v6, v146, v6
	v_fmac_f32_e32 v147, 0xbe3c28d5, v81
	v_add_f32_e32 v69, v70, v69
	v_mov_b32_e32 v70, v196
	v_add_f32_e32 v6, v147, v6
	v_fmac_f32_e32 v148, 0x3f65296c, v82
	v_fmac_f32_e32 v70, 0x3f06c442, v82
	v_mul_f32_e32 v197, 0xbf65296c, v125
	v_add_f32_e32 v7, v148, v6
	v_fma_f32 v6, v83, s15, -v149
	v_add_f32_e32 v70, v70, v69
	v_mov_b32_e32 v69, v197
	v_mul_f32_e32 v198, 0xbf4c4adb, v126
	v_add_f32_e32 v6, v44, v6
	v_fma_f32 v8, v84, s18, -v150
	v_fmac_f32_e32 v69, 0x3ee437d1, v83
	v_mov_b32_e32 v115, v198
	v_add_f32_e32 v6, v8, v6
	v_fma_f32 v8, v85, s14, -v151
	v_add_f32_e32 v69, v44, v69
	v_fmac_f32_e32 v115, 0xbf1a4643, v84
	v_mul_f32_e32 v199, 0x3e3c28d5, v127
	v_add_f32_e32 v6, v8, v6
	v_fma_f32 v8, v86, s13, -v152
	v_add_f32_e32 v69, v115, v69
	v_mov_b32_e32 v115, v199
	v_add_f32_e32 v6, v8, v6
	v_fma_f32 v8, v87, s19, -v153
	v_fmac_f32_e32 v115, 0xbf7ba420, v85
	v_mul_f32_e32 v200, 0x3f763a35, v128
	v_add_f32_e32 v6, v8, v6
	v_fma_f32 v8, v88, s16, -v154
	;; [unrolled: 64-line block ×3, first 2 shown]
	v_add_f32_e32 v115, v116, v115
	v_mov_b32_e32 v116, v208
	v_add_f32_e32 v8, v10, v8
	v_fma_f32 v10, v89, s14, -v171
	v_fmac_f32_e32 v116, 0x3e3c28d5, v78
	v_mul_f32_e32 v209, 0xbf59a7d5, v121
	v_add_f32_e32 v8, v10, v8
	v_fma_f32 v10, v90, s15, -v172
	v_fmac_f32_e32 v173, 0xbf7ee86f, v75
	v_add_f32_e32 v115, v116, v115
	v_mov_b32_e32 v116, v209
	v_add_f32_e32 v8, v10, v8
	v_add_f32_e32 v10, v45, v173
	v_fmac_f32_e32 v174, 0xbe3c28d5, v76
	v_fmac_f32_e32 v116, 0xbf06c442, v79
	v_mul_f32_e32 v210, 0xbe8c1d8e, v122
	v_add_f32_e32 v10, v174, v10
	v_fmac_f32_e32 v175, 0x3f763a35, v77
	v_add_f32_e32 v115, v116, v115
	v_mov_b32_e32 v116, v210
	v_add_f32_e32 v10, v175, v10
	v_fmac_f32_e32 v176, 0x3eb8f4ab, v78
	v_fmac_f32_e32 v116, 0xbf763a35, v80
	v_mul_f32_e32 v211, 0x3ee437d1, v123
	v_add_f32_e32 v10, v176, v10
	v_fmac_f32_e32 v177, 0xbf65296c, v79
	v_add_f32_e32 v115, v116, v115
	v_mov_b32_e32 v116, v211
	;; [unrolled: 8-line block ×3, first 2 shown]
	v_add_f32_e32 v10, v179, v10
	v_fmac_f32_e32 v180, 0x3f2c7751, v82
	v_fmac_f32_e32 v116, 0xbeb8f4ab, v82
	v_mul_f32_e32 v213, 0xbf2c7751, v125
	v_add_f32_e32 v11, v180, v10
	v_fma_f32 v10, v83, s19, -v181
	v_add_f32_e32 v116, v116, v115
	v_mov_b32_e32 v115, v213
	v_mul_f32_e32 v214, 0xbf7ee86f, v126
	v_add_f32_e32 v10, v44, v10
	v_fma_f32 v12, v84, s12, -v182
	v_fmac_f32_e32 v115, 0x3f3d2fb0, v83
	v_mov_b32_e32 v215, v214
	v_add_f32_e32 v10, v12, v10
	v_fma_f32 v12, v85, s18, -v183
	v_add_f32_e32 v115, v44, v115
	v_fmac_f32_e32 v215, 0x3dbcf732, v84
	v_add_f32_e32 v10, v12, v10
	v_fma_f32 v12, v86, s14, -v184
	v_add_f32_e32 v115, v215, v115
	v_mul_f32_e32 v215, 0xbf4c4adb, v127
	v_add_f32_e32 v10, v12, v10
	v_fma_f32 v12, v87, s17, -v185
	v_mov_b32_e32 v216, v215
	v_add_f32_e32 v10, v12, v10
	v_fma_f32 v12, v88, s13, -v186
	v_fmac_f32_e32 v216, 0xbf1a4643, v85
	v_add_f32_e32 v10, v12, v10
	v_fma_f32 v12, v89, s15, -v187
	v_add_f32_e32 v115, v216, v115
	v_mul_f32_e32 v216, 0xbe3c28d5, v128
	v_add_f32_e32 v10, v12, v10
	v_fma_f32 v12, v90, s16, -v188
	v_fmac_f32_e32 v189, 0xbf65296c, v75
	v_mov_b32_e32 v217, v216
	v_add_f32_e32 v10, v12, v10
	v_add_f32_e32 v12, v45, v189
	v_fmac_f32_e32 v190, 0xbf4c4adb, v76
	v_fmac_f32_e32 v217, 0xbf7ba420, v86
	v_add_f32_e32 v12, v190, v12
	v_fmac_f32_e32 v191, 0x3e3c28d5, v77
	v_add_f32_e32 v115, v217, v115
	v_mul_f32_e32 v217, 0x3f06c442, v129
	v_add_f32_e32 v12, v191, v12
	v_fmac_f32_e32 v192, 0x3f763a35, v78
	v_mov_b32_e32 v218, v217
	v_add_f32_e32 v12, v192, v12
	v_fmac_f32_e32 v193, 0x3f2c7751, v79
	v_fmac_f32_e32 v218, 0xbf59a7d5, v87
	v_add_f32_e32 v12, v193, v12
	v_fmac_f32_e32 v194, 0xbeb8f4ab, v80
	v_add_f32_e32 v115, v218, v115
	v_mul_f32_e32 v218, 0x3f763a35, v130
	v_add_f32_e32 v12, v194, v12
	v_fmac_f32_e32 v195, 0xbf7ee86f, v81
	v_mov_b32_e32 v219, v218
	v_add_f32_e32 v12, v195, v12
	v_fmac_f32_e32 v196, 0xbf06c442, v82
	v_fmac_f32_e32 v219, 0xbe8c1d8e, v88
	v_add_f32_e32 v13, v196, v12
	v_fma_f32 v12, v83, s17, -v197
	v_add_f32_e32 v115, v219, v115
	v_mul_f32_e32 v219, 0x3f65296c, v131
	v_add_f32_e32 v12, v44, v12
	v_fma_f32 v14, v84, s15, -v198
	v_mov_b32_e32 v220, v219
	v_add_f32_e32 v12, v14, v12
	v_fma_f32 v14, v85, s12, -v199
	v_fmac_f32_e32 v220, 0x3ee437d1, v89
	v_add_f32_e32 v12, v14, v12
	v_fma_f32 v14, v86, s18, -v200
	v_add_f32_e32 v115, v220, v115
	v_mul_f32_e32 v220, 0x3eb8f4ab, v132
	v_add_f32_e32 v12, v14, v12
	v_fma_f32 v14, v87, s16, -v201
	v_mov_b32_e32 v221, v220
	v_add_f32_e32 v12, v14, v12
	v_fma_f32 v14, v88, s14, -v202
	v_fmac_f32_e32 v221, 0x3f6eb680, v90
	v_add_f32_e32 v12, v14, v12
	v_fma_f32 v14, v89, s19, -v203
	v_add_f32_e32 v115, v221, v115
	v_mul_f32_e32 v221, 0x3f6eb680, v117
	v_add_f32_e32 v12, v14, v12
	v_fma_f32 v14, v90, s13, -v204
	v_fmac_f32_e32 v205, 0xbf2c7751, v75
	v_mov_b32_e32 v117, v221
	v_mul_f32_e32 v222, 0x3f3d2fb0, v118
	v_add_f32_e32 v12, v14, v12
	v_add_f32_e32 v14, v45, v205
	v_fmac_f32_e32 v206, 0xbf7ee86f, v76
	v_fmac_f32_e32 v117, 0x3eb8f4ab, v75
	v_mov_b32_e32 v118, v222
	v_add_f32_e32 v14, v206, v14
	v_fmac_f32_e32 v207, 0xbf4c4adb, v77
	v_add_f32_e32 v117, v45, v117
	v_fmac_f32_e32 v118, 0x3f2c7751, v76
	v_mul_f32_e32 v119, 0x3ee437d1, v119
	v_add_f32_e32 v14, v207, v14
	v_fmac_f32_e32 v208, 0xbe3c28d5, v78
	v_add_f32_e32 v117, v118, v117
	v_mov_b32_e32 v118, v119
	v_add_f32_e32 v14, v208, v14
	v_fmac_f32_e32 v209, 0x3f06c442, v79
	v_fmac_f32_e32 v118, 0x3f65296c, v77
	v_mul_f32_e32 v120, 0x3dbcf732, v120
	v_add_f32_e32 v14, v209, v14
	v_fmac_f32_e32 v210, 0x3f763a35, v80
	v_add_f32_e32 v117, v118, v117
	v_mov_b32_e32 v118, v120
	v_add_f32_e32 v14, v210, v14
	v_fmac_f32_e32 v211, 0x3f65296c, v81
	v_fmac_f32_e32 v118, 0x3f7ee86f, v78
	v_mul_f32_e32 v121, 0xbe8c1d8e, v121
	v_add_f32_e32 v14, v211, v14
	v_fmac_f32_e32 v212, 0x3eb8f4ab, v82
	v_add_f32_e32 v117, v118, v117
	v_mov_b32_e32 v118, v121
	v_add_f32_e32 v15, v212, v14
	v_fma_f32 v14, v83, s16, -v213
	v_fmac_f32_e32 v118, 0x3f763a35, v79
	v_mul_f32_e32 v122, 0xbf1a4643, v122
	v_add_f32_e32 v14, v44, v14
	v_fma_f32 v24, v84, s19, -v214
	v_add_f32_e32 v117, v118, v117
	v_mov_b32_e32 v118, v122
	v_add_f32_e32 v14, v24, v14
	v_fma_f32 v24, v85, s15, -v215
	v_fmac_f32_e32 v118, 0x3f4c4adb, v80
	v_mul_f32_e32 v123, 0xbf59a7d5, v123
	v_add_f32_e32 v14, v24, v14
	v_fma_f32 v24, v86, s12, -v216
	;; [unrolled: 8-line block ×4, first 2 shown]
	v_fmac_f32_e32 v221, 0xbeb8f4ab, v75
	v_add_f32_e32 v118, v118, v117
	v_mov_b32_e32 v117, v125
	v_mul_f32_e32 v126, 0xbf2c7751, v126
	v_add_f32_e32 v14, v24, v14
	v_add_f32_e32 v24, v45, v221
	v_fmac_f32_e32 v222, 0xbf2c7751, v76
	v_fmac_f32_e32 v117, 0x3f6eb680, v83
	v_mov_b32_e32 v223, v126
	v_add_f32_e32 v24, v222, v24
	v_fmac_f32_e32 v119, 0xbf65296c, v77
	v_add_f32_e32 v117, v44, v117
	v_fmac_f32_e32 v223, 0x3f3d2fb0, v84
	v_mul_f32_e32 v127, 0xbf65296c, v127
	v_add_f32_e32 v24, v119, v24
	v_fmac_f32_e32 v120, 0xbf7ee86f, v78
	v_add_f32_e32 v117, v223, v117
	v_mov_b32_e32 v223, v127
	v_add_f32_e32 v24, v120, v24
	v_fmac_f32_e32 v121, 0xbf763a35, v79
	v_fmac_f32_e32 v223, 0x3ee437d1, v85
	v_mul_f32_e32 v128, 0xbf7ee86f, v128
	v_add_f32_e32 v24, v121, v24
	v_fmac_f32_e32 v122, 0xbf4c4adb, v80
	v_add_f32_e32 v117, v223, v117
	v_mov_b32_e32 v223, v128
	v_add_f32_e32 v24, v122, v24
	v_fmac_f32_e32 v123, 0xbf06c442, v81
	v_fmac_f32_e32 v223, 0x3dbcf732, v86
	v_mul_f32_e32 v129, 0xbf763a35, v129
	v_add_f32_e32 v24, v123, v24
	v_fmac_f32_e32 v124, 0xbe3c28d5, v82
	v_add_f32_e32 v117, v223, v117
	v_mov_b32_e32 v223, v129
	v_add_f32_e32 v25, v124, v24
	v_fma_f32 v24, v83, s14, -v125
	v_fmac_f32_e32 v223, 0xbe8c1d8e, v87
	v_mul_f32_e32 v130, 0xbf4c4adb, v130
	v_add_f32_e32 v24, v44, v24
	v_fma_f32 v26, v84, s16, -v126
	v_add_f32_e32 v117, v223, v117
	v_mov_b32_e32 v223, v130
	v_add_f32_e32 v24, v26, v24
	v_fma_f32 v26, v85, s17, -v127
	v_fmac_f32_e32 v223, 0xbf1a4643, v88
	v_mul_f32_e32 v131, 0xbf06c442, v131
	v_add_f32_e32 v24, v26, v24
	v_fma_f32 v26, v86, s19, -v128
	;; [unrolled: 8-line block ×3, first 2 shown]
	v_add_f32_e32 v117, v223, v117
	v_mov_b32_e32 v223, v132
	v_add_f32_e32 v24, v26, v24
	v_fma_f32 v26, v89, s13, -v131
	v_fmac_f32_e32 v223, 0xbf7ba420, v90
	v_add_f32_e32 v24, v26, v24
	v_fma_f32 v26, v90, s12, -v132
	v_add_f32_e32 v117, v223, v117
	v_add_f32_e32 v1, v58, v1
	;; [unrolled: 1-line block ×4, first 2 shown]
	v_lshlrev_b32_e32 v26, 3, v73
	ds_write2_b64 v26, v[0:1], v[117:118] offset1:1
	ds_write2_b64 v26, v[115:116], v[69:70] offset0:2 offset1:3
	ds_write2_b64 v26, v[67:68], v[65:66] offset0:4 offset1:5
	;; [unrolled: 1-line block ×7, first 2 shown]
	ds_write_b64 v26, v[24:25] offset:128
.LBB0_13:
	s_or_b64 exec, exec, s[2:3]
	s_waitcnt lgkmcnt(0)
	s_barrier
	ds_read2_b64 v[1:4], v71 offset1:119
	v_add_u32_e32 v0, 0x400, v71
	ds_read2_b64 v[5:8], v0 offset0:110 offset1:229
	v_add_u32_e32 v15, 0xc00, v71
	ds_read2_b64 v[9:12], v15 offset0:92 offset1:211
	ds_read_b64 v[13:14], v71 offset:5712
	s_waitcnt lgkmcnt(3)
	v_mul_f32_e32 v24, v29, v4
	v_fmac_f32_e32 v24, v28, v3
	v_mul_f32_e32 v3, v29, v3
	v_fma_f32 v3, v28, v4, -v3
	s_waitcnt lgkmcnt(2)
	v_mul_f32_e32 v4, v31, v6
	v_fmac_f32_e32 v4, v30, v5
	v_mul_f32_e32 v5, v31, v5
	v_fma_f32 v5, v30, v6, -v5
	v_mul_f32_e32 v6, v21, v8
	v_fmac_f32_e32 v6, v20, v7
	v_mul_f32_e32 v7, v21, v7
	v_fma_f32 v7, v20, v8, -v7
	s_waitcnt lgkmcnt(1)
	v_mul_f32_e32 v8, v23, v10
	v_fmac_f32_e32 v8, v22, v9
	v_mul_f32_e32 v9, v23, v9
	v_fma_f32 v9, v22, v10, -v9
	;; [unrolled: 9-line block ×3, first 2 shown]
	v_add_f32_e32 v14, v24, v12
	v_add_f32_e32 v16, v3, v13
	v_sub_f32_e32 v3, v3, v13
	v_add_f32_e32 v13, v4, v10
	v_add_f32_e32 v17, v5, v11
	v_sub_f32_e32 v4, v4, v10
	v_add_f32_e32 v10, v6, v8
	v_sub_f32_e32 v6, v8, v6
	;; [unrolled: 2-line block ×4, first 2 shown]
	v_add_f32_e32 v9, v17, v16
	v_add_f32_e32 v8, v10, v8
	v_sub_f32_e32 v12, v24, v12
	v_add_f32_e32 v9, v11, v9
	v_add_f32_e32 v1, v1, v8
	v_sub_f32_e32 v18, v13, v14
	v_sub_f32_e32 v19, v17, v16
	;; [unrolled: 1-line block ×6, first 2 shown]
	v_add_f32_e32 v20, v6, v4
	v_add_f32_e32 v21, v7, v5
	v_sub_f32_e32 v22, v6, v4
	v_sub_f32_e32 v23, v7, v5
	v_sub_f32_e32 v4, v4, v12
	v_sub_f32_e32 v5, v5, v3
	v_add_f32_e32 v2, v2, v9
	v_mov_b32_e32 v24, v1
	v_sub_f32_e32 v6, v12, v6
	v_sub_f32_e32 v7, v3, v7
	v_add_f32_e32 v10, v20, v12
	v_add_f32_e32 v3, v21, v3
	v_mul_f32_e32 v11, 0x3f4a47b2, v14
	v_mul_f32_e32 v12, 0x3f4a47b2, v16
	;; [unrolled: 1-line block ×6, first 2 shown]
	s_mov_b32 s2, 0xbf5ff5aa
	v_mul_f32_e32 v22, 0xbf5ff5aa, v4
	v_mul_f32_e32 v23, 0xbf5ff5aa, v5
	v_fmac_f32_e32 v24, 0xbf955555, v8
	v_mov_b32_e32 v8, v2
	s_mov_b32 s3, 0x3f3bfb3b
	s_mov_b32 s12, 0xbf3bfb3b
	;; [unrolled: 1-line block ×3, first 2 shown]
	v_fmac_f32_e32 v8, 0xbf955555, v9
	v_fma_f32 v9, v18, s3, -v14
	v_fma_f32 v14, v19, s3, -v16
	v_fma_f32 v16, v18, s12, -v11
	v_fmac_f32_e32 v11, 0x3d64c772, v13
	v_fma_f32 v13, v19, s12, -v12
	v_fmac_f32_e32 v12, 0x3d64c772, v17
	v_fma_f32 v17, v4, s2, -v20
	;; [unrolled: 2-line block ×4, first 2 shown]
	v_fma_f32 v22, v7, s13, -v23
	v_add_f32_e32 v23, v11, v24
	v_add_f32_e32 v25, v12, v8
	;; [unrolled: 1-line block ×6, first 2 shown]
	v_fmac_f32_e32 v20, 0xbee1c552, v10
	v_fmac_f32_e32 v21, 0xbee1c552, v3
	;; [unrolled: 1-line block ×6, first 2 shown]
	v_add_f32_e32 v3, v21, v23
	v_sub_f32_e32 v4, v25, v20
	v_add_f32_e32 v5, v22, v12
	v_sub_f32_e32 v6, v13, v19
	v_sub_f32_e32 v7, v9, v18
	v_add_f32_e32 v8, v17, v11
	v_add_f32_e32 v9, v18, v9
	v_sub_f32_e32 v10, v11, v17
	v_sub_f32_e32 v11, v12, v22
	v_add_f32_e32 v12, v19, v13
	v_sub_f32_e32 v13, v23, v21
	v_add_f32_e32 v14, v20, v25
	s_barrier
	ds_write2_b64 v74, v[1:2], v[3:4] offset1:17
	ds_write2_b64 v74, v[5:6], v[7:8] offset0:34 offset1:51
	ds_write2_b64 v74, v[9:10], v[11:12] offset0:68 offset1:85
	ds_write_b64 v74, v[13:14] offset:816
	s_waitcnt lgkmcnt(0)
	s_barrier
	ds_read2_b64 v[1:4], v71 offset1:119
	ds_read2_b64 v[5:8], v0 offset0:110 offset1:229
	ds_read2_b64 v[9:12], v15 offset0:92 offset1:211
	ds_read_b64 v[13:14], v71 offset:5712
	s_waitcnt lgkmcnt(3)
	v_mul_f32_e32 v16, v41, v4
	v_fmac_f32_e32 v16, v40, v3
	v_mul_f32_e32 v3, v41, v3
	v_fma_f32 v3, v40, v4, -v3
	s_waitcnt lgkmcnt(2)
	v_mul_f32_e32 v4, v43, v6
	v_fmac_f32_e32 v4, v42, v5
	v_mul_f32_e32 v5, v43, v5
	v_fma_f32 v5, v42, v6, -v5
	v_mul_f32_e32 v6, v37, v8
	v_fmac_f32_e32 v6, v36, v7
	v_mul_f32_e32 v7, v37, v7
	v_fma_f32 v7, v36, v8, -v7
	s_waitcnt lgkmcnt(1)
	v_mul_f32_e32 v8, v39, v10
	v_fmac_f32_e32 v8, v38, v9
	v_mul_f32_e32 v9, v39, v9
	v_fma_f32 v9, v38, v10, -v9
	;; [unrolled: 9-line block ×3, first 2 shown]
	v_add_f32_e32 v14, v16, v12
	v_add_f32_e32 v17, v3, v13
	v_sub_f32_e32 v3, v3, v13
	v_add_f32_e32 v13, v4, v10
	v_sub_f32_e32 v12, v16, v12
	;; [unrolled: 2-line block ×6, first 2 shown]
	v_add_f32_e32 v9, v16, v17
	v_add_f32_e32 v8, v10, v8
	;; [unrolled: 1-line block ×4, first 2 shown]
	v_sub_f32_e32 v18, v13, v14
	v_sub_f32_e32 v19, v16, v17
	;; [unrolled: 1-line block ×6, first 2 shown]
	v_add_f32_e32 v20, v6, v4
	v_add_f32_e32 v21, v7, v5
	v_sub_f32_e32 v22, v6, v4
	v_sub_f32_e32 v23, v7, v5
	v_add_f32_e32 v2, v2, v9
	v_mov_b32_e32 v24, v1
	v_sub_f32_e32 v6, v12, v6
	v_sub_f32_e32 v7, v3, v7
	;; [unrolled: 1-line block ×4, first 2 shown]
	v_add_f32_e32 v10, v20, v12
	v_add_f32_e32 v3, v21, v3
	v_mul_f32_e32 v11, 0x3f4a47b2, v14
	v_mul_f32_e32 v12, 0x3f4a47b2, v17
	;; [unrolled: 1-line block ×6, first 2 shown]
	v_fmac_f32_e32 v24, 0xbf955555, v8
	v_mov_b32_e32 v8, v2
	v_mul_f32_e32 v22, 0xbf5ff5aa, v4
	v_mul_f32_e32 v23, 0xbf5ff5aa, v5
	v_fmac_f32_e32 v8, 0xbf955555, v9
	v_fma_f32 v9, v18, s3, -v14
	v_fma_f32 v14, v19, s3, -v17
	;; [unrolled: 1-line block ×3, first 2 shown]
	v_fmac_f32_e32 v11, 0x3d64c772, v13
	v_fma_f32 v13, v19, s12, -v12
	v_fmac_f32_e32 v12, 0x3d64c772, v16
	v_fma_f32 v16, v4, s2, -v20
	;; [unrolled: 2-line block ×4, first 2 shown]
	v_fma_f32 v22, v7, s13, -v23
	v_add_f32_e32 v23, v11, v24
	v_add_f32_e32 v25, v12, v8
	v_fmac_f32_e32 v20, 0xbee1c552, v10
	v_fmac_f32_e32 v21, 0xbee1c552, v3
	v_add_f32_e32 v9, v9, v24
	v_add_f32_e32 v11, v14, v8
	;; [unrolled: 1-line block ×4, first 2 shown]
	v_fmac_f32_e32 v16, 0xbee1c552, v10
	v_fmac_f32_e32 v18, 0xbee1c552, v3
	;; [unrolled: 1-line block ×4, first 2 shown]
	v_add_f32_e32 v3, v21, v23
	v_sub_f32_e32 v4, v25, v20
	v_add_f32_e32 v5, v22, v12
	v_sub_f32_e32 v6, v13, v19
	v_sub_f32_e32 v7, v9, v18
	v_add_f32_e32 v8, v16, v11
	v_add_f32_e32 v9, v18, v9
	v_sub_f32_e32 v10, v11, v16
	v_sub_f32_e32 v11, v12, v22
	v_add_f32_e32 v12, v19, v13
	v_sub_f32_e32 v13, v23, v21
	v_add_f32_e32 v14, v20, v25
	ds_write2_b64 v71, v[1:2], v[3:4] offset1:119
	ds_write2_b64 v0, v[5:6], v[7:8] offset0:110 offset1:229
	ds_write2_b64 v15, v[9:10], v[11:12] offset0:92 offset1:211
	ds_write_b64 v71, v[13:14] offset:5712
	s_waitcnt lgkmcnt(0)
	s_barrier
	s_and_b64 exec, exec, s[0:1]
	s_cbranch_execz .LBB0_15
; %bb.14:
	global_load_dwordx2 v[1:2], v71, s[8:9]
	ds_read_b64 v[3:4], v71
	v_mad_u64_u32 v[5:6], s[0:1], s6, v56, 0
	v_mad_u64_u32 v[7:8], s[0:1], s4, v72, 0
	s_mov_b32 s0, 0xca869b81
	s_mov_b32 s1, 0x3f53ab2d
	v_mad_u64_u32 v[9:10], s[2:3], s7, v56, v[6:7]
	v_mov_b32_e32 v12, s11
	v_mad_u64_u32 v[10:11], s[2:3], s5, v72, v[8:9]
	s_mul_i32 s3, s5, 0x188
	s_mul_hi_u32 s5, s4, 0x188
	v_mov_b32_e32 v8, v10
	v_lshlrev_b64 v[7:8], 3, v[7:8]
	s_mul_i32 s2, s4, 0x188
	s_add_i32 s3, s5, s3
	s_movk_i32 s4, 0x1000
	v_add_u32_e32 v10, 0x1000, v71
	s_waitcnt vmcnt(0) lgkmcnt(0)
	v_mul_f32_e32 v6, v4, v2
	v_mul_f32_e32 v2, v3, v2
	v_fmac_f32_e32 v6, v3, v1
	v_fma_f32 v3, v1, v4, -v2
	v_cvt_f64_f32_e32 v[1:2], v6
	v_cvt_f64_f32_e32 v[3:4], v3
	v_mov_b32_e32 v6, v9
	v_lshlrev_b64 v[5:6], 3, v[5:6]
	v_mul_f64 v[1:2], v[1:2], s[0:1]
	v_mul_f64 v[3:4], v[3:4], s[0:1]
	v_add_co_u32_e32 v5, vcc, s10, v5
	v_addc_co_u32_e32 v6, vcc, v12, v6, vcc
	v_add_co_u32_e32 v5, vcc, v5, v7
	v_cvt_f32_f64_e32 v1, v[1:2]
	v_cvt_f32_f64_e32 v2, v[3:4]
	v_addc_co_u32_e32 v6, vcc, v6, v8, vcc
	global_store_dwordx2 v[5:6], v[1:2], off
	global_load_dwordx2 v[7:8], v71, s[8:9] offset:392
	ds_read2_b64 v[1:4], v71 offset0:49 offset1:98
	v_add_co_u32_e32 v5, vcc, s2, v5
	s_waitcnt vmcnt(0) lgkmcnt(0)
	v_mul_f32_e32 v9, v2, v8
	v_mul_f32_e32 v8, v1, v8
	v_fmac_f32_e32 v9, v1, v7
	v_fma_f32 v7, v7, v2, -v8
	v_cvt_f64_f32_e32 v[1:2], v9
	v_cvt_f64_f32_e32 v[7:8], v7
	v_mov_b32_e32 v9, s3
	v_addc_co_u32_e32 v6, vcc, v6, v9, vcc
	v_mul_f64 v[1:2], v[1:2], s[0:1]
	v_mul_f64 v[7:8], v[7:8], s[0:1]
	v_cvt_f32_f64_e32 v1, v[1:2]
	v_cvt_f32_f64_e32 v2, v[7:8]
	global_store_dwordx2 v[5:6], v[1:2], off
	global_load_dwordx2 v[1:2], v71, s[8:9] offset:784
	v_add_co_u32_e32 v5, vcc, s2, v5
	s_waitcnt vmcnt(0)
	v_mul_f32_e32 v7, v4, v2
	v_mul_f32_e32 v2, v3, v2
	v_fmac_f32_e32 v7, v3, v1
	v_fma_f32 v3, v1, v4, -v2
	v_cvt_f64_f32_e32 v[1:2], v7
	v_cvt_f64_f32_e32 v[3:4], v3
	v_mov_b32_e32 v7, s3
	v_addc_co_u32_e32 v6, vcc, v6, v7, vcc
	v_mul_f64 v[1:2], v[1:2], s[0:1]
	v_mul_f64 v[3:4], v[3:4], s[0:1]
	v_cvt_f32_f64_e32 v1, v[1:2]
	v_cvt_f32_f64_e32 v2, v[3:4]
	global_store_dwordx2 v[5:6], v[1:2], off
	global_load_dwordx2 v[7:8], v71, s[8:9] offset:1176
	ds_read2_b64 v[1:4], v71 offset0:147 offset1:196
	v_add_co_u32_e32 v5, vcc, s2, v5
	s_waitcnt vmcnt(0) lgkmcnt(0)
	v_mul_f32_e32 v9, v2, v8
	v_mul_f32_e32 v8, v1, v8
	v_fmac_f32_e32 v9, v1, v7
	v_fma_f32 v7, v7, v2, -v8
	v_cvt_f64_f32_e32 v[1:2], v9
	v_cvt_f64_f32_e32 v[7:8], v7
	v_mov_b32_e32 v9, s3
	v_addc_co_u32_e32 v6, vcc, v6, v9, vcc
	v_mul_f64 v[1:2], v[1:2], s[0:1]
	v_mul_f64 v[7:8], v[7:8], s[0:1]
	v_cvt_f32_f64_e32 v1, v[1:2]
	v_cvt_f32_f64_e32 v2, v[7:8]
	global_store_dwordx2 v[5:6], v[1:2], off
	global_load_dwordx2 v[1:2], v71, s[8:9] offset:1568
	s_waitcnt vmcnt(0)
	v_mul_f32_e32 v7, v4, v2
	v_mul_f32_e32 v2, v3, v2
	v_fmac_f32_e32 v7, v3, v1
	v_fma_f32 v3, v1, v4, -v2
	v_cvt_f64_f32_e32 v[1:2], v7
	v_cvt_f64_f32_e32 v[3:4], v3
	v_mov_b32_e32 v7, s3
	v_mul_f64 v[1:2], v[1:2], s[0:1]
	v_mul_f64 v[3:4], v[3:4], s[0:1]
	v_cvt_f32_f64_e32 v1, v[1:2]
	v_cvt_f32_f64_e32 v2, v[3:4]
	v_add_co_u32_e32 v4, vcc, s2, v5
	v_addc_co_u32_e32 v5, vcc, v6, v7, vcc
	global_store_dwordx2 v[4:5], v[1:2], off
	global_load_dwordx2 v[6:7], v71, s[8:9] offset:1960
	ds_read2_b64 v[0:3], v0 offset0:117 offset1:166
	v_add_co_u32_e32 v4, vcc, s2, v4
	s_waitcnt vmcnt(0) lgkmcnt(0)
	v_mul_f32_e32 v8, v1, v7
	v_mul_f32_e32 v7, v0, v7
	v_fmac_f32_e32 v8, v0, v6
	v_fma_f32 v6, v6, v1, -v7
	v_cvt_f64_f32_e32 v[0:1], v8
	v_cvt_f64_f32_e32 v[6:7], v6
	v_mov_b32_e32 v8, s3
	v_addc_co_u32_e32 v5, vcc, v5, v8, vcc
	v_mul_f64 v[0:1], v[0:1], s[0:1]
	v_mul_f64 v[6:7], v[6:7], s[0:1]
	v_add_u32_e32 v8, 0x800, v71
	v_cvt_f32_f64_e32 v0, v[0:1]
	v_cvt_f32_f64_e32 v1, v[6:7]
	global_store_dwordx2 v[4:5], v[0:1], off
	global_load_dwordx2 v[0:1], v71, s[8:9] offset:2352
	v_add_co_u32_e32 v4, vcc, s2, v4
	s_waitcnt vmcnt(0)
	v_mul_f32_e32 v6, v3, v1
	v_mul_f32_e32 v1, v2, v1
	v_fmac_f32_e32 v6, v2, v0
	v_fma_f32 v2, v0, v3, -v1
	v_cvt_f64_f32_e32 v[0:1], v6
	v_cvt_f64_f32_e32 v[2:3], v2
	v_mov_b32_e32 v6, s3
	v_addc_co_u32_e32 v5, vcc, v5, v6, vcc
	v_mul_f64 v[0:1], v[0:1], s[0:1]
	v_mul_f64 v[2:3], v[2:3], s[0:1]
	v_cvt_f32_f64_e32 v0, v[0:1]
	v_cvt_f32_f64_e32 v1, v[2:3]
	global_store_dwordx2 v[4:5], v[0:1], off
	global_load_dwordx2 v[6:7], v71, s[8:9] offset:2744
	ds_read2_b64 v[0:3], v8 offset0:87 offset1:136
	v_add_co_u32_e32 v4, vcc, s2, v4
	s_waitcnt vmcnt(0) lgkmcnt(0)
	v_mul_f32_e32 v9, v1, v7
	v_mul_f32_e32 v7, v0, v7
	v_fmac_f32_e32 v9, v0, v6
	v_fma_f32 v6, v6, v1, -v7
	v_cvt_f64_f32_e32 v[0:1], v9
	v_cvt_f64_f32_e32 v[6:7], v6
	v_mov_b32_e32 v9, s3
	v_addc_co_u32_e32 v5, vcc, v5, v9, vcc
	v_mul_f64 v[0:1], v[0:1], s[0:1]
	v_mul_f64 v[6:7], v[6:7], s[0:1]
	v_cvt_f32_f64_e32 v0, v[0:1]
	v_cvt_f32_f64_e32 v1, v[6:7]
	global_store_dwordx2 v[4:5], v[0:1], off
	global_load_dwordx2 v[0:1], v71, s[8:9] offset:3136
	v_add_co_u32_e32 v4, vcc, s2, v4
	s_waitcnt vmcnt(0)
	v_mul_f32_e32 v6, v3, v1
	v_mul_f32_e32 v1, v2, v1
	v_fmac_f32_e32 v6, v2, v0
	v_fma_f32 v2, v0, v3, -v1
	v_cvt_f64_f32_e32 v[0:1], v6
	v_cvt_f64_f32_e32 v[2:3], v2
	v_mov_b32_e32 v6, s3
	v_addc_co_u32_e32 v5, vcc, v5, v6, vcc
	v_mul_f64 v[0:1], v[0:1], s[0:1]
	v_mul_f64 v[2:3], v[2:3], s[0:1]
	v_cvt_f32_f64_e32 v0, v[0:1]
	v_cvt_f32_f64_e32 v1, v[2:3]
	global_store_dwordx2 v[4:5], v[0:1], off
	global_load_dwordx2 v[6:7], v71, s[8:9] offset:3528
	ds_read2_b64 v[0:3], v8 offset0:185 offset1:234
	v_add_co_u32_e32 v4, vcc, s2, v4
	s_waitcnt vmcnt(0) lgkmcnt(0)
	v_mul_f32_e32 v8, v1, v7
	v_mul_f32_e32 v7, v0, v7
	v_fmac_f32_e32 v8, v0, v6
	v_fma_f32 v6, v6, v1, -v7
	v_cvt_f64_f32_e32 v[0:1], v8
	v_cvt_f64_f32_e32 v[6:7], v6
	v_mov_b32_e32 v8, s3
	v_addc_co_u32_e32 v5, vcc, v5, v8, vcc
	v_mul_f64 v[0:1], v[0:1], s[0:1]
	v_mul_f64 v[6:7], v[6:7], s[0:1]
	v_cvt_f32_f64_e32 v0, v[0:1]
	v_cvt_f32_f64_e32 v1, v[6:7]
	v_add_co_u32_e32 v7, vcc, s8, v71
	global_store_dwordx2 v[4:5], v[0:1], off
	global_load_dwordx2 v[0:1], v71, s[8:9] offset:3920
	s_waitcnt vmcnt(0)
	v_mul_f32_e32 v6, v3, v1
	v_mul_f32_e32 v1, v2, v1
	v_fmac_f32_e32 v6, v2, v0
	v_fma_f32 v2, v0, v3, -v1
	v_cvt_f64_f32_e32 v[0:1], v6
	v_cvt_f64_f32_e32 v[2:3], v2
	v_mov_b32_e32 v6, s9
	v_addc_co_u32_e32 v8, vcc, 0, v6, vcc
	v_mul_f64 v[0:1], v[0:1], s[0:1]
	v_mul_f64 v[2:3], v[2:3], s[0:1]
	v_add_co_u32_e32 v6, vcc, s4, v7
	v_addc_co_u32_e32 v7, vcc, 0, v8, vcc
	v_add_co_u32_e32 v4, vcc, s2, v4
	v_cvt_f32_f64_e32 v0, v[0:1]
	v_cvt_f32_f64_e32 v1, v[2:3]
	v_addc_co_u32_e32 v5, vcc, v5, v9, vcc
	global_store_dwordx2 v[4:5], v[0:1], off
	global_load_dwordx2 v[8:9], v[6:7], off offset:216
	ds_read2_b64 v[0:3], v10 offset0:27 offset1:76
	v_add_co_u32_e32 v4, vcc, s2, v4
	s_waitcnt vmcnt(0) lgkmcnt(0)
	v_mul_f32_e32 v11, v1, v9
	v_mul_f32_e32 v9, v0, v9
	v_fmac_f32_e32 v11, v0, v8
	v_fma_f32 v8, v8, v1, -v9
	v_cvt_f64_f32_e32 v[0:1], v11
	v_cvt_f64_f32_e32 v[8:9], v8
	v_mov_b32_e32 v11, s3
	v_addc_co_u32_e32 v5, vcc, v5, v11, vcc
	v_mul_f64 v[0:1], v[0:1], s[0:1]
	v_mul_f64 v[8:9], v[8:9], s[0:1]
	v_cvt_f32_f64_e32 v0, v[0:1]
	v_cvt_f32_f64_e32 v1, v[8:9]
	global_store_dwordx2 v[4:5], v[0:1], off
	global_load_dwordx2 v[0:1], v[6:7], off offset:608
	v_add_co_u32_e32 v4, vcc, s2, v4
	s_waitcnt vmcnt(0)
	v_mul_f32_e32 v8, v3, v1
	v_mul_f32_e32 v1, v2, v1
	v_fmac_f32_e32 v8, v2, v0
	v_fma_f32 v2, v0, v3, -v1
	v_cvt_f64_f32_e32 v[0:1], v8
	v_cvt_f64_f32_e32 v[2:3], v2
	v_mov_b32_e32 v8, s3
	v_addc_co_u32_e32 v5, vcc, v5, v8, vcc
	v_mul_f64 v[0:1], v[0:1], s[0:1]
	v_mul_f64 v[2:3], v[2:3], s[0:1]
	v_cvt_f32_f64_e32 v0, v[0:1]
	v_cvt_f32_f64_e32 v1, v[2:3]
	global_store_dwordx2 v[4:5], v[0:1], off
	global_load_dwordx2 v[8:9], v[6:7], off offset:1000
	ds_read2_b64 v[0:3], v10 offset0:125 offset1:174
	v_add_co_u32_e32 v4, vcc, s2, v4
	s_waitcnt vmcnt(0) lgkmcnt(0)
	v_mul_f32_e32 v10, v1, v9
	v_mul_f32_e32 v9, v0, v9
	v_fmac_f32_e32 v10, v0, v8
	v_fma_f32 v8, v8, v1, -v9
	v_cvt_f64_f32_e32 v[0:1], v10
	v_cvt_f64_f32_e32 v[8:9], v8
	v_mov_b32_e32 v10, s3
	v_addc_co_u32_e32 v5, vcc, v5, v10, vcc
	v_mul_f64 v[0:1], v[0:1], s[0:1]
	v_mul_f64 v[8:9], v[8:9], s[0:1]
	v_cvt_f32_f64_e32 v0, v[0:1]
	v_cvt_f32_f64_e32 v1, v[8:9]
	global_store_dwordx2 v[4:5], v[0:1], off
	global_load_dwordx2 v[0:1], v[6:7], off offset:1392
	v_add_co_u32_e32 v4, vcc, s2, v4
	s_waitcnt vmcnt(0)
	v_mul_f32_e32 v8, v3, v1
	v_mul_f32_e32 v1, v2, v1
	v_fmac_f32_e32 v8, v2, v0
	v_fma_f32 v2, v0, v3, -v1
	v_cvt_f64_f32_e32 v[0:1], v8
	v_cvt_f64_f32_e32 v[2:3], v2
	v_mov_b32_e32 v8, s3
	v_addc_co_u32_e32 v5, vcc, v5, v8, vcc
	v_mul_f64 v[0:1], v[0:1], s[0:1]
	v_mul_f64 v[2:3], v[2:3], s[0:1]
	v_cvt_f32_f64_e32 v0, v[0:1]
	v_cvt_f32_f64_e32 v1, v[2:3]
	global_store_dwordx2 v[4:5], v[0:1], off
	global_load_dwordx2 v[8:9], v[6:7], off offset:1784
	v_add_u32_e32 v0, 0x1400, v71
	ds_read2_b64 v[0:3], v0 offset0:95 offset1:144
	v_add_co_u32_e32 v4, vcc, s2, v4
	s_waitcnt vmcnt(0) lgkmcnt(0)
	v_mul_f32_e32 v10, v1, v9
	v_mul_f32_e32 v9, v0, v9
	v_fmac_f32_e32 v10, v0, v8
	v_fma_f32 v8, v8, v1, -v9
	v_cvt_f64_f32_e32 v[0:1], v10
	v_cvt_f64_f32_e32 v[8:9], v8
	v_mov_b32_e32 v10, s3
	v_addc_co_u32_e32 v5, vcc, v5, v10, vcc
	v_mul_f64 v[0:1], v[0:1], s[0:1]
	v_mul_f64 v[8:9], v[8:9], s[0:1]
	v_cvt_f32_f64_e32 v0, v[0:1]
	v_cvt_f32_f64_e32 v1, v[8:9]
	global_store_dwordx2 v[4:5], v[0:1], off
	global_load_dwordx2 v[0:1], v[6:7], off offset:2176
	s_waitcnt vmcnt(0)
	v_mul_f32_e32 v6, v3, v1
	v_mul_f32_e32 v1, v2, v1
	v_fmac_f32_e32 v6, v2, v0
	v_fma_f32 v2, v0, v3, -v1
	v_cvt_f64_f32_e32 v[0:1], v6
	v_cvt_f64_f32_e32 v[2:3], v2
	v_mov_b32_e32 v6, s3
	v_mul_f64 v[0:1], v[0:1], s[0:1]
	v_mul_f64 v[2:3], v[2:3], s[0:1]
	v_cvt_f32_f64_e32 v0, v[0:1]
	v_cvt_f32_f64_e32 v1, v[2:3]
	v_add_co_u32_e32 v2, vcc, s2, v4
	v_addc_co_u32_e32 v3, vcc, v5, v6, vcc
	global_store_dwordx2 v[2:3], v[0:1], off
.LBB0_15:
	s_endpgm
	.section	.rodata,"a",@progbits
	.p2align	6, 0x0
	.amdhsa_kernel bluestein_single_fwd_len833_dim1_sp_op_CI_CI
		.amdhsa_group_segment_fixed_size 6664
		.amdhsa_private_segment_fixed_size 0
		.amdhsa_kernarg_size 104
		.amdhsa_user_sgpr_count 6
		.amdhsa_user_sgpr_private_segment_buffer 1
		.amdhsa_user_sgpr_dispatch_ptr 0
		.amdhsa_user_sgpr_queue_ptr 0
		.amdhsa_user_sgpr_kernarg_segment_ptr 1
		.amdhsa_user_sgpr_dispatch_id 0
		.amdhsa_user_sgpr_flat_scratch_init 0
		.amdhsa_user_sgpr_private_segment_size 0
		.amdhsa_uses_dynamic_stack 0
		.amdhsa_system_sgpr_private_segment_wavefront_offset 0
		.amdhsa_system_sgpr_workgroup_id_x 1
		.amdhsa_system_sgpr_workgroup_id_y 0
		.amdhsa_system_sgpr_workgroup_id_z 0
		.amdhsa_system_sgpr_workgroup_info 0
		.amdhsa_system_vgpr_workitem_id 0
		.amdhsa_next_free_vgpr 250
		.amdhsa_next_free_sgpr 20
		.amdhsa_reserve_vcc 1
		.amdhsa_reserve_flat_scratch 0
		.amdhsa_float_round_mode_32 0
		.amdhsa_float_round_mode_16_64 0
		.amdhsa_float_denorm_mode_32 3
		.amdhsa_float_denorm_mode_16_64 3
		.amdhsa_dx10_clamp 1
		.amdhsa_ieee_mode 1
		.amdhsa_fp16_overflow 0
		.amdhsa_exception_fp_ieee_invalid_op 0
		.amdhsa_exception_fp_denorm_src 0
		.amdhsa_exception_fp_ieee_div_zero 0
		.amdhsa_exception_fp_ieee_overflow 0
		.amdhsa_exception_fp_ieee_underflow 0
		.amdhsa_exception_fp_ieee_inexact 0
		.amdhsa_exception_int_div_zero 0
	.end_amdhsa_kernel
	.text
.Lfunc_end0:
	.size	bluestein_single_fwd_len833_dim1_sp_op_CI_CI, .Lfunc_end0-bluestein_single_fwd_len833_dim1_sp_op_CI_CI
                                        ; -- End function
	.section	.AMDGPU.csdata,"",@progbits
; Kernel info:
; codeLenInByte = 16920
; NumSgprs: 24
; NumVgprs: 250
; ScratchSize: 0
; MemoryBound: 0
; FloatMode: 240
; IeeeMode: 1
; LDSByteSize: 6664 bytes/workgroup (compile time only)
; SGPRBlocks: 2
; VGPRBlocks: 62
; NumSGPRsForWavesPerEU: 24
; NumVGPRsForWavesPerEU: 250
; Occupancy: 1
; WaveLimiterHint : 1
; COMPUTE_PGM_RSRC2:SCRATCH_EN: 0
; COMPUTE_PGM_RSRC2:USER_SGPR: 6
; COMPUTE_PGM_RSRC2:TRAP_HANDLER: 0
; COMPUTE_PGM_RSRC2:TGID_X_EN: 1
; COMPUTE_PGM_RSRC2:TGID_Y_EN: 0
; COMPUTE_PGM_RSRC2:TGID_Z_EN: 0
; COMPUTE_PGM_RSRC2:TIDIG_COMP_CNT: 0
	.type	__hip_cuid_89917ceeeb3f1757,@object ; @__hip_cuid_89917ceeeb3f1757
	.section	.bss,"aw",@nobits
	.globl	__hip_cuid_89917ceeeb3f1757
__hip_cuid_89917ceeeb3f1757:
	.byte	0                               ; 0x0
	.size	__hip_cuid_89917ceeeb3f1757, 1

	.ident	"AMD clang version 19.0.0git (https://github.com/RadeonOpenCompute/llvm-project roc-6.4.0 25133 c7fe45cf4b819c5991fe208aaa96edf142730f1d)"
	.section	".note.GNU-stack","",@progbits
	.addrsig
	.addrsig_sym __hip_cuid_89917ceeeb3f1757
	.amdgpu_metadata
---
amdhsa.kernels:
  - .args:
      - .actual_access:  read_only
        .address_space:  global
        .offset:         0
        .size:           8
        .value_kind:     global_buffer
      - .actual_access:  read_only
        .address_space:  global
        .offset:         8
        .size:           8
        .value_kind:     global_buffer
      - .actual_access:  read_only
        .address_space:  global
        .offset:         16
        .size:           8
        .value_kind:     global_buffer
      - .actual_access:  read_only
        .address_space:  global
        .offset:         24
        .size:           8
        .value_kind:     global_buffer
      - .actual_access:  read_only
        .address_space:  global
        .offset:         32
        .size:           8
        .value_kind:     global_buffer
      - .offset:         40
        .size:           8
        .value_kind:     by_value
      - .address_space:  global
        .offset:         48
        .size:           8
        .value_kind:     global_buffer
      - .address_space:  global
        .offset:         56
        .size:           8
        .value_kind:     global_buffer
      - .address_space:  global
        .offset:         64
        .size:           8
        .value_kind:     global_buffer
      - .address_space:  global
        .offset:         72
        .size:           8
        .value_kind:     global_buffer
      - .offset:         80
        .size:           4
        .value_kind:     by_value
      - .address_space:  global
        .offset:         88
        .size:           8
        .value_kind:     global_buffer
      - .address_space:  global
        .offset:         96
        .size:           8
        .value_kind:     global_buffer
    .group_segment_fixed_size: 6664
    .kernarg_segment_align: 8
    .kernarg_segment_size: 104
    .language:       OpenCL C
    .language_version:
      - 2
      - 0
    .max_flat_workgroup_size: 119
    .name:           bluestein_single_fwd_len833_dim1_sp_op_CI_CI
    .private_segment_fixed_size: 0
    .sgpr_count:     24
    .sgpr_spill_count: 0
    .symbol:         bluestein_single_fwd_len833_dim1_sp_op_CI_CI.kd
    .uniform_work_group_size: 1
    .uses_dynamic_stack: false
    .vgpr_count:     250
    .vgpr_spill_count: 0
    .wavefront_size: 64
amdhsa.target:   amdgcn-amd-amdhsa--gfx906
amdhsa.version:
  - 1
  - 2
...

	.end_amdgpu_metadata
